;; amdgpu-corpus repo=ROCm/rocFFT kind=compiled arch=gfx1030 opt=O3
	.text
	.amdgcn_target "amdgcn-amd-amdhsa--gfx1030"
	.amdhsa_code_object_version 6
	.protected	bluestein_single_back_len1820_dim1_sp_op_CI_CI ; -- Begin function bluestein_single_back_len1820_dim1_sp_op_CI_CI
	.globl	bluestein_single_back_len1820_dim1_sp_op_CI_CI
	.p2align	8
	.type	bluestein_single_back_len1820_dim1_sp_op_CI_CI,@function
bluestein_single_back_len1820_dim1_sp_op_CI_CI: ; @bluestein_single_back_len1820_dim1_sp_op_CI_CI
; %bb.0:
	s_load_dwordx4 s[12:15], s[4:5], 0x28
	v_mul_u32_u24_e32 v1, 0x169, v0
	v_mov_b32_e32 v75, 0
	s_mov_b32 s0, exec_lo
	v_lshrrev_b32_e32 v1, 16, v1
	v_add_nc_u32_e32 v74, s6, v1
	s_waitcnt lgkmcnt(0)
	v_cmpx_gt_u64_e64 s[12:13], v[74:75]
	s_cbranch_execz .LBB0_18
; %bb.1:
	s_clause 0x1
	s_load_dwordx4 s[8:11], s[4:5], 0x18
	s_load_dwordx4 s[0:3], s[4:5], 0x0
	v_mul_lo_u16 v1, 0xb6, v1
	s_load_dwordx2 s[4:5], s[4:5], 0x38
	v_sub_nc_u16 v1, v0, v1
	v_and_b32_e32 v107, 0xffff, v1
	v_lshlrev_b32_e32 v108, 3, v107
	s_waitcnt lgkmcnt(0)
	s_load_dwordx4 s[16:19], s[8:9], 0x0
	s_clause 0x1
	global_load_dwordx2 v[83:84], v108, s[0:1]
	global_load_dwordx2 v[85:86], v108, s[0:1] offset:1456
	v_add_co_u32 v111, s6, s0, v108
	v_add_co_ci_u32_e64 v112, null, s1, 0, s6
	v_add_nc_u32_e32 v28, 0x2c00, v108
	v_add_co_u32 v4, vcc_lo, 0x800, v111
	v_add_co_ci_u32_e32 v5, vcc_lo, 0, v112, vcc_lo
	v_add_co_u32 v8, vcc_lo, 0x1000, v111
	v_add_co_ci_u32_e32 v9, vcc_lo, 0, v112, vcc_lo
	;; [unrolled: 2-line block ×3, first 2 shown]
	s_waitcnt lgkmcnt(0)
	v_mad_u64_u32 v[2:3], null, s18, v74, 0
	v_mad_u64_u32 v[6:7], null, s16, v107, 0
	global_load_dwordx2 v[91:92], v[4:5], off offset:864
	s_mul_i32 s0, s17, 0x5b0
	s_mul_hi_u32 s1, s16, 0x5b0
	s_mul_i32 s6, s16, 0x5b0
	v_mov_b32_e32 v0, v3
	s_add_i32 s1, s1, s0
	v_mov_b32_e32 v3, v7
	s_clause 0x2
	global_load_dwordx2 v[89:90], v[8:9], off offset:272
	global_load_dwordx2 v[87:88], v[8:9], off offset:1728
	;; [unrolled: 1-line block ×3, first 2 shown]
	v_mad_u64_u32 v[12:13], null, s19, v74, v[0:1]
	v_mad_u64_u32 v[15:16], null, s17, v107, v[3:4]
	v_add_co_u32 v13, vcc_lo, 0x2000, v111
	v_add_co_ci_u32_e32 v14, vcc_lo, 0, v112, vcc_lo
	v_mov_b32_e32 v3, v12
	v_add_co_u32 v16, vcc_lo, 0x2800, v111
	v_mov_b32_e32 v7, v15
	v_add_co_ci_u32_e32 v17, vcc_lo, 0, v112, vcc_lo
	v_lshlrev_b64 v[2:3], 3, v[2:3]
	v_add_co_u32 v18, vcc_lo, 0x3000, v111
	v_add_co_ci_u32_e32 v19, vcc_lo, 0, v112, vcc_lo
	v_lshlrev_b64 v[4:5], 3, v[6:7]
	v_add_co_u32 v0, vcc_lo, s14, v2
	v_add_co_ci_u32_e32 v3, vcc_lo, s15, v3, vcc_lo
	s_clause 0x1
	global_load_dwordx2 v[81:82], v[13:14], off offset:544
	global_load_dwordx2 v[72:73], v[13:14], off offset:2000
	v_add_co_u32 v2, vcc_lo, v0, v4
	v_add_co_ci_u32_e32 v3, vcc_lo, v3, v5, vcc_lo
	v_add_nc_u32_e32 v26, 0xa00, v108
	v_add_co_u32 v4, vcc_lo, v2, s6
	v_add_co_ci_u32_e32 v5, vcc_lo, s1, v3, vcc_lo
	v_add_nc_u32_e32 v27, 0x1600, v108
	v_add_co_u32 v6, vcc_lo, v4, s6
	v_add_co_ci_u32_e32 v7, vcc_lo, s1, v5, vcc_lo
	v_add_nc_u32_e32 v0, 0x2000, v108
	v_add_co_u32 v8, vcc_lo, v6, s6
	v_add_co_ci_u32_e32 v9, vcc_lo, s1, v7, vcc_lo
	s_clause 0x2
	global_load_dwordx2 v[2:3], v[2:3], off
	global_load_dwordx2 v[4:5], v[4:5], off
	global_load_dwordx2 v[6:7], v[6:7], off
	v_add_co_u32 v10, vcc_lo, v8, s6
	v_add_co_ci_u32_e32 v11, vcc_lo, s1, v9, vcc_lo
	global_load_dwordx2 v[8:9], v[8:9], off
	v_add_co_u32 v12, vcc_lo, v10, s6
	v_add_co_ci_u32_e32 v13, vcc_lo, s1, v11, vcc_lo
	global_load_dwordx2 v[10:11], v[10:11], off
	;; [unrolled: 3-line block ×5, first 2 shown]
	v_add_co_u32 v24, vcc_lo, v22, s6
	v_add_co_ci_u32_e32 v25, vcc_lo, s1, v23, vcc_lo
	global_load_dwordx2 v[75:76], v[16:17], off offset:1408
	global_load_dwordx2 v[16:17], v[22:23], off
	global_load_dwordx2 v[77:78], v[18:19], off offset:816
	global_load_dwordx2 v[18:19], v[24:25], off
	s_load_dwordx4 s[8:11], s[10:11], 0x0
	v_cmp_gt_u16_e32 vcc_lo, 0x8c, v1
	s_waitcnt vmcnt(11)
	v_mul_f32_e32 v22, v3, v84
	s_waitcnt vmcnt(10)
	v_mul_f32_e32 v24, v5, v86
	v_mul_f32_e32 v23, v2, v84
	;; [unrolled: 1-line block ×3, first 2 shown]
	v_fmac_f32_e32 v22, v2, v83
	v_fmac_f32_e32 v24, v4, v85
	s_waitcnt vmcnt(8)
	v_mul_f32_e32 v4, v9, v90
	v_mul_f32_e32 v2, v7, v92
	v_fma_f32 v23, v3, v83, -v23
	v_mul_f32_e32 v3, v6, v92
	v_fma_f32 v25, v5, v85, -v25
	v_mul_f32_e32 v5, v8, v90
	v_fmac_f32_e32 v4, v8, v89
	v_fmac_f32_e32 v2, v6, v91
	s_waitcnt vmcnt(7)
	v_mul_f32_e32 v6, v11, v88
	v_fma_f32 v3, v7, v91, -v3
	s_waitcnt vmcnt(6)
	v_mul_f32_e32 v8, v13, v80
	v_mul_f32_e32 v7, v10, v88
	v_fma_f32 v5, v9, v89, -v5
	v_mul_f32_e32 v9, v12, v80
	v_fmac_f32_e32 v6, v10, v87
	v_fmac_f32_e32 v8, v12, v79
	v_fma_f32 v7, v11, v87, -v7
	s_waitcnt vmcnt(5)
	v_mul_f32_e32 v10, v15, v82
	v_mul_f32_e32 v11, v14, v82
	v_fma_f32 v9, v13, v79, -v9
	s_waitcnt vmcnt(4)
	v_mul_f32_e32 v12, v21, v73
	v_mul_f32_e32 v13, v20, v73
	v_fmac_f32_e32 v10, v14, v81
	v_fma_f32 v11, v15, v81, -v11
	s_waitcnt vmcnt(2)
	v_mul_f32_e32 v14, v17, v76
	v_fmac_f32_e32 v12, v20, v72
	s_waitcnt vmcnt(0)
	v_mul_f32_e32 v20, v19, v78
	v_mul_f32_e32 v29, v18, v78
	;; [unrolled: 1-line block ×3, first 2 shown]
	v_fma_f32 v13, v21, v72, -v13
	v_fmac_f32_e32 v14, v16, v75
	v_fmac_f32_e32 v20, v18, v77
	v_fma_f32 v21, v19, v77, -v29
	v_mov_b32_e32 v18, 3
	v_mul_lo_u16 v19, v1, 10
	v_fma_f32 v15, v17, v75, -v15
	ds_write2_b64 v108, v[22:23], v[24:25] offset1:182
	ds_write2_b64 v26, v[2:3], v[4:5] offset0:44 offset1:226
	ds_write2_b64 v27, v[6:7], v[8:9] offset0:24 offset1:206
	;; [unrolled: 1-line block ×4, first 2 shown]
	s_waitcnt lgkmcnt(0)
	s_barrier
	buffer_gl0_inv
	ds_read2_b64 v[2:5], v108 offset1:182
	ds_read2_b64 v[6:9], v26 offset0:44 offset1:226
	ds_read2_b64 v[10:13], v27 offset0:24 offset1:206
	;; [unrolled: 1-line block ×3, first 2 shown]
	v_lshlrev_b32_sdwa v113, v18, v19 dst_sel:DWORD dst_unused:UNUSED_PAD src0_sel:DWORD src1_sel:WORD_0
	ds_read2_b64 v[18:21], v28 offset0:48 offset1:230
	s_waitcnt lgkmcnt(0)
	s_barrier
	buffer_gl0_inv
	v_add_f32_e32 v1, v2, v6
	v_sub_f32_e32 v24, v6, v10
	v_sub_f32_e32 v25, v10, v6
	v_add_f32_e32 v26, v3, v7
	v_add_f32_e32 v27, v11, v15
	v_sub_f32_e32 v29, v7, v11
	v_sub_f32_e32 v30, v11, v7
	v_add_f32_e32 v31, v4, v8
	v_add_f32_e32 v32, v12, v16
	;; [unrolled: 1-line block ×3, first 2 shown]
	v_sub_f32_e32 v35, v8, v12
	v_add_f32_e32 v37, v13, v17
	v_sub_f32_e32 v39, v9, v13
	v_sub_f32_e32 v40, v13, v9
	v_sub_f32_e32 v41, v7, v19
	v_add_f32_e32 v7, v7, v19
	v_sub_f32_e32 v43, v9, v21
	v_add_f32_e32 v44, v8, v20
	v_add_f32_e32 v9, v9, v21
	v_sub_f32_e32 v45, v18, v14
	v_sub_f32_e32 v46, v14, v18
	v_sub_f32_e32 v47, v19, v15
	v_sub_f32_e32 v49, v20, v16
	v_add_f32_e32 v22, v10, v14
	v_sub_f32_e32 v23, v11, v15
	v_sub_f32_e32 v28, v10, v14
	;; [unrolled: 1-line block ×5, first 2 shown]
	v_add_f32_e32 v42, v6, v18
	v_sub_f32_e32 v8, v8, v20
	v_sub_f32_e32 v48, v15, v19
	;; [unrolled: 1-line block ×3, first 2 shown]
	v_add_f32_e32 v1, v1, v10
	v_add_f32_e32 v10, v26, v11
	;; [unrolled: 1-line block ×8, first 2 shown]
	v_fma_f32 v34, -0.5, v37, v5
	v_fmac_f32_e32 v5, -0.5, v9
	v_fma_f32 v35, -0.5, v27, v3
	v_fma_f32 v3, -0.5, v7, v3
	;; [unrolled: 1-line block ×4, first 2 shown]
	v_sub_f32_e32 v6, v6, v18
	v_sub_f32_e32 v51, v21, v17
	;; [unrolled: 1-line block ×3, first 2 shown]
	v_add_f32_e32 v26, v30, v48
	v_add_f32_e32 v30, v36, v50
	v_fma_f32 v9, -0.5, v22, v2
	v_fma_f32 v2, -0.5, v42, v2
	v_fmamk_f32 v27, v43, 0x3f737871, v7
	v_fmac_f32_e32 v7, 0xbf737871, v43
	v_fmamk_f32 v32, v33, 0xbf737871, v4
	v_fmac_f32_e32 v4, 0x3f737871, v33
	;; [unrolled: 2-line block ×4, first 2 shown]
	v_add_f32_e32 v31, v39, v51
	v_add_f32_e32 v22, v40, v52
	;; [unrolled: 1-line block ×6, first 2 shown]
	v_fmamk_f32 v14, v41, 0x3f737871, v9
	v_fmac_f32_e32 v9, 0xbf737871, v41
	v_fmamk_f32 v15, v23, 0xbf737871, v2
	v_fmac_f32_e32 v2, 0x3f737871, v23
	v_fmamk_f32 v16, v6, 0xbf737871, v35
	v_fmac_f32_e32 v35, 0x3f737871, v6
	v_fmac_f32_e32 v27, 0x3f167918, v33
	v_fmac_f32_e32 v7, 0xbf167918, v33
	;; [unrolled: 1-line block ×7, first 2 shown]
	v_fmamk_f32 v17, v28, 0x3f737871, v3
	v_fmac_f32_e32 v3, 0xbf737871, v28
	v_add_f32_e32 v1, v1, v18
	v_add_f32_e32 v10, v10, v19
	;; [unrolled: 1-line block ×4, first 2 shown]
	v_fmac_f32_e32 v14, 0x3f167918, v23
	v_fmac_f32_e32 v9, 0xbf167918, v23
	;; [unrolled: 1-line block ×23, first 2 shown]
	v_add_f32_e32 v24, v1, v11
	v_add_f32_e32 v25, v10, v12
	v_sub_f32_e32 v30, v1, v11
	v_sub_f32_e32 v31, v10, v12
	v_mul_f32_e32 v1, 0x3f4f1bbd, v27
	v_mul_f32_e32 v6, 0x3e9e377a, v4
	;; [unrolled: 1-line block ×8, first 2 shown]
	v_fmac_f32_e32 v17, 0x3e9e377a, v26
	v_fmac_f32_e32 v3, 0x3e9e377a, v26
	v_fma_f32 v5, 0x3f737871, v5, -v6
	v_fmac_f32_e32 v1, 0x3f167918, v36
	v_fmac_f32_e32 v8, 0x3e9e377a, v32
	v_fma_f32 v6, 0x3f167918, v34, -v10
	;; [unrolled: 3-line block ×3, first 2 shown]
	v_fma_f32 v7, 0xbf167918, v7, -v18
	v_add_f32_e32 v26, v14, v1
	v_add_f32_e32 v40, v15, v8
	;; [unrolled: 1-line block ×8, first 2 shown]
	v_sub_f32_e32 v36, v14, v1
	v_sub_f32_e32 v38, v15, v8
	;; [unrolled: 1-line block ×8, first 2 shown]
	ds_write_b128 v113, v[24:27]
	ds_write_b128 v113, v[40:43] offset:16
	ds_write_b128 v113, v[28:31] offset:32
	;; [unrolled: 1-line block ×4, first 2 shown]
	s_waitcnt lgkmcnt(0)
	s_barrier
	buffer_gl0_inv
                                        ; implicit-def: $vgpr44
                                        ; implicit-def: $vgpr48
	s_and_saveexec_b32 s0, vcc_lo
	s_cbranch_execz .LBB0_3
; %bb.2:
	v_add_nc_u32_e32 v1, 0x800, v108
	v_add_nc_u32_e32 v2, 0x1000, v108
	;; [unrolled: 1-line block ×4, first 2 shown]
	ds_read2_b64 v[24:27], v108 offset1:140
	ds_read2_b64 v[40:43], v1 offset0:24 offset1:164
	ds_read2_b64 v[28:31], v2 offset0:48 offset1:188
	;; [unrolled: 1-line block ×5, first 2 shown]
	ds_read_b64 v[48:49], v108 offset:13440
.LBB0_3:
	s_or_b32 exec_lo, exec_lo, s0
	v_and_b32_e32 v0, 0xff, v107
	v_mul_lo_u16 v0, 0xcd, v0
	v_lshrrev_b16 v110, 11, v0
	v_mul_lo_u16 v0, v110, 10
	v_sub_nc_u16 v0, v107, v0
	v_and_b32_e32 v109, 0xff, v0
	v_mul_u32_u24_e32 v0, 12, v109
	v_lshlrev_b32_e32 v0, 3, v0
	s_clause 0x5
	global_load_dwordx4 v[20:23], v0, s[2:3]
	global_load_dwordx4 v[16:19], v0, s[2:3] offset:16
	global_load_dwordx4 v[8:11], v0, s[2:3] offset:32
	;; [unrolled: 1-line block ×5, first 2 shown]
	s_waitcnt vmcnt(0) lgkmcnt(0)
	s_barrier
	buffer_gl0_inv
	v_mul_f32_e32 v50, v27, v21
	v_mul_f32_e32 v71, v26, v21
	;; [unrolled: 1-line block ×10, first 2 shown]
	v_fmac_f32_e32 v69, v43, v16
	v_fma_f32 v43, v26, v20, -v50
	v_fmac_f32_e32 v71, v27, v20
	v_fma_f32 v26, v48, v2, -v95
	v_fmac_f32_e32 v64, v49, v2
	v_mul_f32_e32 v53, v29, v19
	v_mul_f32_e32 v59, v45, v15
	;; [unrolled: 1-line block ×3, first 2 shown]
	v_fma_f32 v93, v40, v22, -v51
	v_fmac_f32_e32 v70, v41, v22
	v_fma_f32 v27, v46, v0, -v94
	v_fmac_f32_e32 v60, v47, v0
	v_sub_f32_e32 v48, v43, v26
	v_sub_f32_e32 v49, v71, v64
	v_mul_f32_e32 v68, v28, v19
	v_mul_f32_e32 v65, v38, v5
	v_mul_f32_e32 v58, v35, v13
	v_mul_f32_e32 v61, v34, v13
	v_fma_f32 v42, v42, v16, -v52
	v_fma_f32 v41, v28, v18, -v53
	;; [unrolled: 1-line block ×3, first 2 shown]
	v_fmac_f32_e32 v62, v45, v14
	v_add_f32_e32 v98, v43, v26
	v_add_f32_e32 v99, v71, v64
	v_sub_f32_e32 v50, v93, v27
	v_sub_f32_e32 v51, v70, v60
	v_mul_f32_e32 v45, 0xbeedf032, v49
	v_mul_f32_e32 v94, 0xbeedf032, v48
	;; [unrolled: 1-line block ×19, first 2 shown]
	v_fmac_f32_e32 v68, v29, v18
	v_fmac_f32_e32 v65, v39, v4
	v_fma_f32 v29, v34, v12, -v58
	v_fmac_f32_e32 v61, v35, v12
	v_add_f32_e32 v106, v93, v27
	v_add_f32_e32 v114, v70, v60
	v_sub_f32_e32 v52, v69, v62
	v_sub_f32_e32 v53, v42, v28
	v_mul_f32_e32 v39, 0xbf52af12, v51
	v_mul_f32_e32 v47, 0xbf52af12, v50
	;; [unrolled: 1-line block ×12, first 2 shown]
	v_fmamk_f32 v48, v98, 0x3f62ad3f, v45
	v_fma_f32 v49, 0x3f62ad3f, v99, -v94
	v_fmamk_f32 v174, v98, 0x3f116cb1, v101
	v_fma_f32 v176, 0x3f116cb1, v99, -v117
	;; [unrolled: 2-line block ×6, first 2 shown]
	v_fma_f32 v40, v30, v8, -v54
	v_fmac_f32_e32 v67, v31, v8
	v_fma_f32 v36, v36, v10, -v55
	v_fmac_f32_e32 v66, v37, v10
	;; [unrolled: 2-line block ×3, first 2 shown]
	v_add_f32_e32 v118, v42, v28
	v_add_f32_e32 v120, v69, v62
	v_sub_f32_e32 v54, v68, v61
	v_sub_f32_e32 v55, v41, v29
	v_mul_f32_e32 v37, 0xbf7e222b, v52
	v_mul_f32_e32 v46, 0xbf7e222b, v53
	;; [unrolled: 1-line block ×12, first 2 shown]
	v_fmamk_f32 v50, v106, 0x3f116cb1, v39
	v_fma_f32 v51, 0x3f116cb1, v114, -v47
	v_fmamk_f32 v175, v106, 0xbeb58ec6, v100
	v_fma_f32 v177, 0xbeb58ec6, v114, -v115
	v_fmamk_f32 v187, v106, 0xbf788fa5, v124
	v_fma_f32 v189, 0xbf788fa5, v114, -v131
	v_fmamk_f32 v199, v106, 0xbf3f9e67, v142
	v_fma_f32 v201, 0xbf3f9e67, v114, -v147
	v_fmamk_f32 v211, v106, 0x3df6dbef, v154
	v_fma_f32 v213, 0x3df6dbef, v114, -v160
	v_fmamk_f32 v223, v106, 0x3f62ad3f, v165
	v_fma_f32 v225, 0x3f62ad3f, v114, -v172
	v_add_f32_e32 v48, v24, v48
	v_add_f32_e32 v49, v25, v49
	;; [unrolled: 1-line block ×12, first 2 shown]
	v_fma_f32 v31, v38, v4, -v56
	v_add_f32_e32 v130, v41, v29
	v_add_f32_e32 v133, v68, v61
	v_sub_f32_e32 v56, v67, v63
	v_sub_f32_e32 v57, v40, v30
	v_mul_f32_e32 v35, 0xbf6f5d39, v54
	v_mul_f32_e32 v44, 0xbf6f5d39, v55
	;; [unrolled: 1-line block ×12, first 2 shown]
	v_fmamk_f32 v52, v118, 0x3df6dbef, v37
	v_fma_f32 v53, 0x3df6dbef, v120, -v46
	v_fmamk_f32 v178, v118, 0xbf788fa5, v102
	v_fma_f32 v179, 0xbf788fa5, v120, -v116
	;; [unrolled: 2-line block ×6, first 2 shown]
	v_add_f32_e32 v48, v50, v48
	v_add_f32_e32 v49, v51, v49
	;; [unrolled: 1-line block ×14, first 2 shown]
	v_sub_f32_e32 v58, v66, v65
	v_sub_f32_e32 v59, v36, v31
	v_mul_f32_e32 v33, 0xbf29c268, v56
	v_mul_f32_e32 v38, 0xbf29c268, v57
	;; [unrolled: 1-line block ×12, first 2 shown]
	v_fmamk_f32 v54, v130, 0xbeb58ec6, v35
	v_fma_f32 v55, 0xbeb58ec6, v133, -v44
	v_fmamk_f32 v180, v130, 0xbf3f9e67, v96
	v_fma_f32 v181, 0xbf3f9e67, v133, -v103
	;; [unrolled: 2-line block ×6, first 2 shown]
	v_add_f32_e32 v48, v52, v48
	v_add_f32_e32 v49, v53, v49
	;; [unrolled: 1-line block ×14, first 2 shown]
	v_mul_f32_e32 v32, 0xbe750f2a, v58
	v_mul_f32_e32 v34, 0xbe750f2a, v59
	;; [unrolled: 1-line block ×12, first 2 shown]
	v_fmamk_f32 v56, v136, 0xbf3f9e67, v33
	v_fma_f32 v57, 0xbf3f9e67, v139, -v38
	v_fmamk_f32 v182, v136, 0x3df6dbef, v97
	v_fma_f32 v183, 0x3df6dbef, v139, -v104
	;; [unrolled: 2-line block ×6, first 2 shown]
	v_add_f32_e32 v48, v54, v48
	v_add_f32_e32 v49, v55, v49
	;; [unrolled: 1-line block ×12, first 2 shown]
	v_fmamk_f32 v58, v137, 0xbf788fa5, v32
	v_fma_f32 v59, 0xbf788fa5, v135, -v34
	v_fmamk_f32 v184, v137, 0x3f62ad3f, v95
	v_fma_f32 v185, 0x3f62ad3f, v135, -v105
	;; [unrolled: 2-line block ×6, first 2 shown]
	v_add_f32_e32 v48, v56, v48
	v_add_f32_e32 v49, v57, v49
	;; [unrolled: 1-line block ×24, first 2 shown]
	s_and_saveexec_b32 s0, vcc_lo
	s_cbranch_execz .LBB0_5
; %bb.4:
	v_mul_f32_e32 v175, 0x3f62ad3f, v99
	v_mul_f32_e32 v177, 0x3f116cb1, v99
	;; [unrolled: 1-line block ×12, first 2 shown]
	v_add_f32_e32 v99, v173, v99
	v_mul_f32_e32 v174, 0x3f62ad3f, v98
	v_mul_f32_e32 v176, 0x3f116cb1, v98
	;; [unrolled: 1-line block ×12, first 2 shown]
	v_add_f32_e32 v99, v25, v99
	v_add_f32_e32 v114, v172, v114
	v_mul_f32_e32 v184, 0x3f116cb1, v106
	v_mul_f32_e32 v186, 0xbeb58ec6, v106
	;; [unrolled: 1-line block ×12, first 2 shown]
	v_sub_f32_e32 v98, v98, v166
	v_add_f32_e32 v99, v114, v99
	v_add_f32_e32 v114, v169, v120
	v_mul_f32_e32 v194, 0x3df6dbef, v118
	v_mul_f32_e32 v196, 0xbf788fa5, v118
	;; [unrolled: 1-line block ×12, first 2 shown]
	v_add_f32_e32 v98, v24, v98
	v_sub_f32_e32 v106, v106, v165
	v_add_f32_e32 v99, v114, v99
	v_add_f32_e32 v114, v170, v133
	v_mul_f32_e32 v204, 0xbeb58ec6, v130
	v_mul_f32_e32 v206, 0xbf3f9e67, v130
	;; [unrolled: 1-line block ×6, first 2 shown]
	v_add_f32_e32 v98, v106, v98
	v_sub_f32_e32 v106, v118, v167
	v_add_f32_e32 v99, v114, v99
	v_add_f32_e32 v114, v171, v139
	;; [unrolled: 1-line block ×3, first 2 shown]
	v_mul_f32_e32 v214, 0xbf3f9e67, v136
	v_mul_f32_e32 v216, 0x3df6dbef, v136
	;; [unrolled: 1-line block ×12, first 2 shown]
	v_add_f32_e32 v98, v106, v98
	v_sub_f32_e32 v106, v130, v163
	v_add_f32_e32 v99, v114, v99
	v_add_f32_e32 v114, v25, v118
	;; [unrolled: 1-line block ×5, first 2 shown]
	v_sub_f32_e32 v135, v136, v164
	v_sub_f32_e32 v136, v182, v155
	v_add_f32_e32 v114, v118, v114
	v_add_f32_e32 v118, v158, v203
	v_add_f32_e32 v117, v117, v177
	v_add_f32_e32 v98, v130, v99
	v_add_f32_e32 v130, v135, v106
	v_add_f32_e32 v99, v24, v136
	v_sub_f32_e32 v106, v192, v154
	v_add_f32_e32 v114, v118, v114
	v_add_f32_e32 v118, v159, v213
	v_add_f32_e32 v135, v149, v181
	v_add_f32_e32 v117, v25, v117
	v_add_f32_e32 v115, v115, v187
	v_add_f32_e32 v99, v106, v99
	;; [unrolled: 7-line block ×3, first 2 shown]
	v_add_f32_e32 v99, v106, v99
	v_sub_f32_e32 v106, v212, v152
	v_add_f32_e32 v114, v118, v114
	v_add_f32_e32 v118, v157, v133
	;; [unrolled: 1-line block ×6, first 2 shown]
	v_mul_f32_e32 v166, 0xbeb58ec6, v137
	v_add_f32_e32 v99, v106, v99
	v_sub_f32_e32 v106, v222, v153
	v_add_f32_e32 v136, v118, v114
	v_sub_f32_e32 v114, v180, v143
	v_add_f32_e32 v118, v135, v133
	v_add_f32_e32 v133, v145, v211
	;; [unrolled: 1-line block ×5, first 2 shown]
	v_sub_f32_e32 v106, v166, v150
	v_add_f32_e32 v114, v24, v114
	v_sub_f32_e32 v139, v190, v142
	v_add_f32_e32 v118, v133, v118
	v_add_f32_e32 v133, v146, v221
	v_add_f32_e32 v103, v104, v103
	v_add_f32_e32 v104, v105, v226
	v_add_f32_e32 v71, v25, v71
	v_add_f32_e32 v105, v24, v43
	v_add_f32_e32 v135, v106, v99
	v_add_f32_e32 v106, v139, v114
	v_sub_f32_e32 v114, v200, v140
	v_add_f32_e32 v118, v133, v118
	v_add_f32_e32 v120, v144, v120
	;; [unrolled: 1-line block ×5, first 2 shown]
	v_sub_f32_e32 v124, v188, v124
	v_add_f32_e32 v106, v120, v118
	v_sub_f32_e32 v118, v178, v125
	v_add_f32_e32 v69, v70, v69
	v_add_f32_e32 v42, v71, v42
	;; [unrolled: 1-line block ×7, first 2 shown]
	v_sub_f32_e32 v121, v198, v121
	v_add_f32_e32 v99, v25, v99
	v_add_f32_e32 v118, v124, v118
	v_sub_f32_e32 v101, v176, v101
	v_add_f32_e32 v25, v25, v93
	v_add_f32_e32 v47, v47, v185
	;; [unrolled: 3-line block ×3, first 2 shown]
	v_add_f32_e32 v40, v41, v40
	v_add_f32_e32 v118, v121, v118
	v_sub_f32_e32 v121, v208, v122
	v_add_f32_e32 v101, v24, v101
	v_add_f32_e32 v25, v47, v25
	v_add_f32_e32 v24, v24, v42
	v_sub_f32_e32 v39, v184, v39
	v_add_f32_e32 v41, v46, v66
	;; [unrolled: 4-line block ×4, first 2 shown]
	v_add_f32_e32 v31, v36, v31
	v_add_f32_e32 v131, v131, v189
	;; [unrolled: 1-line block ×3, first 2 shown]
	v_sub_f32_e32 v118, v186, v100
	v_add_f32_e32 v25, v40, v25
	v_add_f32_e32 v36, v38, v215
	;; [unrolled: 1-line block ×8, first 2 shown]
	v_sub_f32_e32 v102, v196, v102
	v_sub_f32_e32 v31, v204, v35
	v_add_f32_e32 v25, v36, v25
	v_add_f32_e32 v36, v37, v61
	;; [unrolled: 1-line block ×6, first 2 shown]
	v_sub_f32_e32 v96, v206, v96
	v_sub_f32_e32 v132, v210, v141
	v_mul_f32_e32 v173, 0xbf788fa5, v137
	v_add_f32_e32 v24, v31, v24
	v_sub_f32_e32 v30, v214, v33
	v_add_f32_e32 v33, v36, v62
	v_add_f32_e32 v28, v29, v28
	v_mov_b32_e32 v29, 0x82
	v_mul_f32_e32 v225, 0x3f62ad3f, v137
	v_mul_f32_e32 v172, 0xbf3f9e67, v137
	v_add_f32_e32 v99, v120, v99
	v_add_f32_e32 v120, v127, v219
	;; [unrolled: 1-line block ×3, first 2 shown]
	v_sub_f32_e32 v96, v216, v97
	v_mul_f32_e32 v228, 0x3f116cb1, v137
	v_add_f32_e32 v114, v132, v114
	v_sub_f32_e32 v125, v220, v138
	v_mul_f32_e32 v137, 0x3df6dbef, v137
	v_add_f32_e32 v31, v34, v224
	v_add_f32_e32 v24, v30, v24
	v_sub_f32_e32 v30, v173, v32
	v_add_f32_e32 v32, v33, v60
	v_add_f32_e32 v28, v28, v27
	v_mul_u32_u24_sdwa v29, v110, v29 dst_sel:DWORD dst_unused:UNUSED_PAD src0_sel:WORD_0 src1_sel:DWORD
	v_add_f32_e32 v99, v120, v99
	v_add_f32_e32 v120, v126, v227
	v_sub_f32_e32 v117, v172, v119
	v_add_f32_e32 v70, v96, v94
	v_sub_f32_e32 v35, v225, v95
	v_add_f32_e32 v114, v125, v114
	v_sub_f32_e32 v122, v228, v134
	v_sub_f32_e32 v137, v137, v162
	v_add_f32_e32 v25, v31, v25
	v_add_f32_e32 v24, v30, v24
	;; [unrolled: 1-line block ×4, first 2 shown]
	v_add_lshl_u32 v28, v29, v109, 3
	v_add_f32_e32 v100, v120, v99
	v_add_f32_e32 v99, v117, v116
	;; [unrolled: 1-line block ×6, first 2 shown]
	ds_write2_b64 v28, v[26:27], v[24:25] offset1:10
	ds_write2_b64 v28, v[42:43], v[99:100] offset0:20 offset1:30
	ds_write2_b64 v28, v[105:106], v[135:136] offset0:40 offset1:50
	;; [unrolled: 1-line block ×5, first 2 shown]
	ds_write_b64 v28, v[50:51] offset:960
.LBB0_5:
	s_or_b32 exec_lo, exec_lo, s0
	s_waitcnt lgkmcnt(0)
	s_barrier
	buffer_gl0_inv
	ds_read_b64 v[60:61], v108
	ds_read_b64 v[95:96], v108 offset:2080
	ds_read_b64 v[93:94], v108 offset:4160
	;; [unrolled: 1-line block ×6, first 2 shown]
	v_cmp_gt_u16_e64 s0, 0x4e, v107
                                        ; implicit-def: $vgpr62
	s_and_saveexec_b32 s1, s0
	s_cbranch_execz .LBB0_7
; %bb.6:
	ds_read_b64 v[48:49], v108 offset:1456
	ds_read_b64 v[58:59], v108 offset:3536
	;; [unrolled: 1-line block ×7, first 2 shown]
.LBB0_7:
	s_or_b32 exec_lo, exec_lo, s1
	v_add_nc_u32_e32 v24, 0xffffff7e, v107
	v_cmp_gt_u16_e64 s1, 0x82, v107
	v_cndmask_b32_e64 v97, v24, v107, s1
	v_mul_i32_i24_e32 v24, 48, v97
	v_mul_hi_i32_i24_e32 v25, 48, v97
	v_add_co_u32 v24, s1, s2, v24
	v_add_co_ci_u32_e64 v25, s1, s3, v25, s1
	s_clause 0x2
	global_load_dwordx4 v[44:47], v[24:25], off offset:960
	global_load_dwordx4 v[40:43], v[24:25], off offset:976
	;; [unrolled: 1-line block ×3, first 2 shown]
	v_add_nc_u32_e32 v24, 0xb6, v107
	v_mov_b32_e32 v25, 0xfc1
	v_mul_u32_u24_sdwa v25, v24, v25 dst_sel:DWORD dst_unused:UNUSED_PAD src0_sel:WORD_0 src1_sel:DWORD
	v_lshrrev_b32_e32 v25, 19, v25
	v_mul_lo_u16 v25, 0x82, v25
	v_sub_nc_u16 v114, v24, v25
	v_mul_lo_u16 v24, v114, 48
	v_and_b32_e32 v24, 0xffff, v24
	v_add_co_u32 v32, s1, s2, v24
	v_add_co_ci_u32_e64 v33, null, s3, 0, s1
	s_clause 0x2
	global_load_dwordx4 v[28:31], v[32:33], off offset:960
	global_load_dwordx4 v[24:27], v[32:33], off offset:976
	;; [unrolled: 1-line block ×3, first 2 shown]
	v_cmp_lt_u16_e64 s1, 0x81, v107
	s_waitcnt vmcnt(0) lgkmcnt(0)
	s_barrier
	buffer_gl0_inv
	v_cndmask_b32_e64 v98, 0, 0x38e, s1
	v_add_lshl_u32 v115, v97, v98, 3
	v_add_nc_u32_e32 v97, 0x800, v115
	v_add_nc_u32_e32 v98, 0x1000, v115
	v_mul_f32_e32 v99, v96, v45
	v_mul_f32_e32 v100, v95, v45
	;; [unrolled: 1-line block ×12, first 2 shown]
	v_fma_f32 v95, v95, v44, -v99
	v_fmac_f32_e32 v100, v96, v44
	v_fma_f32 v93, v93, v46, -v101
	v_fmac_f32_e32 v102, v94, v46
	;; [unrolled: 2-line block ×3, first 2 shown]
	v_fma_f32 v66, v66, v42, -v105
	v_fma_f32 v69, v70, v38, -v118
	v_fmac_f32_e32 v119, v71, v38
	v_fmac_f32_e32 v106, v67, v42
	v_fma_f32 v64, v64, v36, -v116
	v_fmac_f32_e32 v117, v65, v36
	v_add_f32_e32 v65, v95, v69
	v_add_f32_e32 v67, v100, v119
	v_sub_f32_e32 v69, v95, v69
	v_add_f32_e32 v71, v93, v64
	v_add_f32_e32 v94, v102, v117
	v_sub_f32_e32 v64, v93, v64
	;; [unrolled: 3-line block ×3, first 2 shown]
	v_sub_f32_e32 v70, v100, v119
	v_sub_f32_e32 v93, v102, v117
	;; [unrolled: 1-line block ×3, first 2 shown]
	v_add_f32_e32 v99, v71, v65
	v_add_f32_e32 v100, v94, v67
	v_sub_f32_e32 v101, v71, v65
	v_sub_f32_e32 v102, v94, v67
	;; [unrolled: 1-line block ×5, first 2 shown]
	v_add_f32_e32 v103, v66, v64
	v_sub_f32_e32 v105, v66, v64
	v_sub_f32_e32 v64, v64, v69
	;; [unrolled: 1-line block ×3, first 2 shown]
	v_add_f32_e32 v104, v68, v93
	v_sub_f32_e32 v106, v68, v93
	v_sub_f32_e32 v66, v69, v66
	;; [unrolled: 1-line block ×3, first 2 shown]
	v_mul_f32_e32 v116, v59, v29
	v_mul_f32_e32 v117, v58, v29
	;; [unrolled: 1-line block ×10, first 2 shown]
	v_add_f32_e32 v95, v95, v99
	v_add_f32_e32 v96, v96, v100
	;; [unrolled: 1-line block ×3, first 2 shown]
	v_mul_f32_e32 v65, 0x3f4a47b2, v65
	v_mul_f32_e32 v67, 0x3f4a47b2, v67
	;; [unrolled: 1-line block ×5, first 2 shown]
	v_sub_f32_e32 v68, v70, v68
	v_mul_f32_e32 v120, v55, v25
	v_mul_f32_e32 v122, v53, v27
	v_add_f32_e32 v70, v104, v70
	v_mul_f32_e32 v100, 0x3d64c772, v94
	v_mul_f32_e32 v104, 0xbf08b237, v106
	;; [unrolled: 1-line block ×3, first 2 shown]
	v_fma_f32 v58, v58, v28, -v116
	v_fmac_f32_e32 v117, v59, v28
	v_fma_f32 v56, v56, v30, -v118
	v_fmac_f32_e32 v119, v57, v30
	v_fmac_f32_e32 v121, v55, v24
	;; [unrolled: 1-line block ×3, first 2 shown]
	v_fma_f32 v50, v50, v32, -v124
	v_fmac_f32_e32 v125, v51, v32
	v_fma_f32 v51, v62, v34, -v126
	v_fmac_f32_e32 v127, v63, v34
	v_add_f32_e32 v62, v60, v95
	v_add_f32_e32 v63, v61, v96
	v_fmamk_f32 v53, v71, 0x3d64c772, v65
	v_fmamk_f32 v55, v94, 0x3d64c772, v67
	v_fma_f32 v57, 0x3f3bfb3b, v101, -v99
	v_fmamk_f32 v99, v66, 0x3eae86e6, v103
	v_fma_f32 v71, 0x3f5ff5aa, v64, -v103
	v_fma_f32 v94, 0xbeae86e6, v66, -v105
	;; [unrolled: 1-line block ×7, first 2 shown]
	v_fmamk_f32 v100, v68, 0x3eae86e6, v104
	v_fma_f32 v93, 0x3f5ff5aa, v93, -v104
	v_fma_f32 v101, 0xbeae86e6, v68, -v106
	v_fmamk_f32 v64, v95, 0xbf955555, v62
	v_fmamk_f32 v65, v96, 0xbf955555, v63
	v_fmac_f32_e32 v99, 0x3ee1c552, v69
	v_fmac_f32_e32 v71, 0x3ee1c552, v69
	v_fmac_f32_e32 v94, 0x3ee1c552, v69
	v_add_f32_e32 v66, v58, v51
	v_add_f32_e32 v67, v117, v127
	;; [unrolled: 1-line block ×4, first 2 shown]
	v_fmac_f32_e32 v93, 0x3ee1c552, v70
	v_fmac_f32_e32 v101, 0x3ee1c552, v70
	v_sub_f32_e32 v51, v58, v51
	v_sub_f32_e32 v58, v117, v127
	;; [unrolled: 1-line block ×4, first 2 shown]
	v_add_f32_e32 v102, v54, v52
	v_add_f32_e32 v103, v121, v123
	v_sub_f32_e32 v52, v52, v54
	v_sub_f32_e32 v54, v123, v121
	v_add_f32_e32 v57, v57, v64
	v_add_f32_e32 v59, v59, v65
	;; [unrolled: 1-line block ×5, first 2 shown]
	v_fmac_f32_e32 v100, 0x3ee1c552, v70
	v_add_f32_e32 v53, v53, v64
	v_add_f32_e32 v55, v55, v65
	v_add_f32_e32 v61, v61, v65
	v_sub_f32_e32 v106, v68, v66
	v_sub_f32_e32 v116, v69, v67
	;; [unrolled: 1-line block ×6, first 2 shown]
	v_add_f32_e32 v121, v52, v50
	v_add_f32_e32 v122, v54, v56
	v_sub_f32_e32 v123, v52, v50
	v_sub_f32_e32 v124, v54, v56
	v_sub_f32_e32 v50, v50, v51
	v_sub_f32_e32 v56, v56, v58
	v_add_f32_e32 v66, v101, v60
	v_sub_f32_e32 v68, v57, v93
	v_add_f32_e32 v69, v71, v59
	v_add_f32_e32 v70, v93, v57
	v_sub_f32_e32 v71, v59, v71
	v_sub_f32_e32 v93, v60, v101
	v_add_f32_e32 v59, v102, v104
	v_add_f32_e32 v60, v103, v105
	v_sub_f32_e32 v125, v51, v52
	v_sub_f32_e32 v126, v58, v54
	v_add_f32_e32 v64, v100, v53
	v_sub_f32_e32 v65, v55, v99
	v_sub_f32_e32 v67, v61, v94
	v_add_f32_e32 v94, v94, v61
	v_sub_f32_e32 v95, v53, v100
	v_add_f32_e32 v96, v99, v55
	v_mul_f32_e32 v54, 0x3f4a47b2, v117
	v_mul_f32_e32 v55, 0x3f4a47b2, v118
	;; [unrolled: 1-line block ×8, first 2 shown]
	v_add_f32_e32 v52, v48, v59
	v_add_f32_e32 v53, v49, v60
	;; [unrolled: 1-line block ×4, first 2 shown]
	v_fmamk_f32 v48, v119, 0x3d64c772, v54
	v_fmamk_f32 v49, v120, 0x3d64c772, v55
	v_fma_f32 v103, 0x3f3bfb3b, v106, -v57
	v_fma_f32 v61, 0x3f3bfb3b, v116, -v61
	;; [unrolled: 1-line block ×4, first 2 shown]
	v_fmamk_f32 v54, v125, 0x3eae86e6, v99
	v_fmamk_f32 v55, v126, 0x3eae86e6, v100
	v_fma_f32 v99, 0x3f5ff5aa, v50, -v99
	v_fma_f32 v50, 0x3f5ff5aa, v56, -v100
	;; [unrolled: 1-line block ×4, first 2 shown]
	v_fmamk_f32 v100, v59, 0xbf955555, v52
	v_fmamk_f32 v101, v60, 0xbf955555, v53
	v_fmac_f32_e32 v54, 0x3ee1c552, v51
	v_fmac_f32_e32 v55, 0x3ee1c552, v58
	;; [unrolled: 1-line block ×6, first 2 shown]
	v_add_f32_e32 v58, v48, v100
	v_add_f32_e32 v51, v103, v100
	;; [unrolled: 1-line block ×6, first 2 shown]
	v_sub_f32_e32 v48, v51, v50
	v_add_f32_e32 v49, v99, v102
	v_add_f32_e32 v50, v50, v51
	v_sub_f32_e32 v51, v102, v99
	v_sub_f32_e32 v105, v60, v57
	v_add_f32_e32 v106, v56, v61
	v_sub_f32_e32 v103, v58, v55
	v_add_f32_e32 v104, v54, v59
	ds_write2_b64 v115, v[62:63], v[64:65] offset1:130
	ds_write2_b64 v97, v[66:67], v[68:69] offset0:4 offset1:134
	ds_write2_b64 v98, v[70:71], v[93:94] offset0:8 offset1:138
	ds_write_b64 v115, v[95:96] offset:6240
	s_and_saveexec_b32 s1, s0
	s_cbranch_execz .LBB0_9
; %bb.8:
	v_mov_b32_e32 v62, 3
	v_sub_f32_e32 v61, v61, v56
	v_sub_f32_e32 v56, v59, v54
	v_add_f32_e32 v55, v55, v58
	v_add_f32_e32 v60, v57, v60
	v_lshlrev_b32_sdwa v62, v62, v114 dst_sel:DWORD dst_unused:UNUSED_PAD src0_sel:DWORD src1_sel:WORD_0
	v_add_nc_u32_e32 v54, 0x1c00, v62
	v_add_nc_u32_e32 v57, 0x2400, v62
	;; [unrolled: 1-line block ×3, first 2 shown]
	ds_write2_b64 v54, v[52:53], v[55:56] offset0:14 offset1:144
	ds_write2_b64 v57, v[60:61], v[48:49] offset0:18 offset1:148
	;; [unrolled: 1-line block ×3, first 2 shown]
	ds_write_b64 v62, v[103:104] offset:13520
.LBB0_9:
	s_or_b32 exec_lo, exec_lo, s1
	v_add_co_u32 v56, s1, s2, v108
	v_add_co_ci_u32_e64 v57, null, s3, 0, s1
	s_waitcnt lgkmcnt(0)
	v_add_co_u32 v52, s1, 0x1800, v56
	v_add_co_ci_u32_e64 v53, s1, 0, v57, s1
	v_add_co_u32 v54, s1, 0x2000, v56
	v_add_co_ci_u32_e64 v55, s1, 0, v57, s1
	s_barrier
	buffer_gl0_inv
	s_clause 0x1
	global_load_dwordx2 v[93:94], v[52:53], off offset:1056
	global_load_dwordx2 v[95:96], v[54:55], off offset:464
	v_add_co_u32 v52, s1, 0x2800, v56
	v_add_co_ci_u32_e64 v53, s1, 0, v57, s1
	v_add_co_u32 v56, s1, 0x3000, v56
	v_add_co_ci_u32_e64 v57, s1, 0, v57, s1
	s_clause 0x2
	global_load_dwordx2 v[99:100], v[54:55], off offset:1920
	global_load_dwordx2 v[97:98], v[52:53], off offset:1328
	;; [unrolled: 1-line block ×3, first 2 shown]
	v_add_nc_u32_e32 v128, 0x1600, v108
	v_add_nc_u32_e32 v116, 0x2000, v108
	;; [unrolled: 1-line block ×3, first 2 shown]
	ds_read2_b64 v[52:55], v108 offset1:182
	ds_read2_b64 v[56:59], v128 offset0:24 offset1:206
	ds_read2_b64 v[60:63], v116 offset0:68 offset1:250
	v_add_nc_u32_e32 v129, 0xa00, v108
	ds_read2_b64 v[64:67], v130 offset0:48 offset1:230
	v_add_co_u32 v117, s1, 0x38e0, v111
	v_add_co_ci_u32_e64 v118, s1, 0, v112, s1
	ds_read2_b64 v[68:71], v129 offset0:44 offset1:226
	v_add_co_u32 v119, s1, 0x3800, v111
	v_add_co_ci_u32_e64 v120, s1, 0, v112, s1
	v_add_co_u32 v121, s1, 0x4000, v111
	v_add_co_ci_u32_e64 v122, s1, 0, v112, s1
	;; [unrolled: 2-line block ×3, first 2 shown]
	s_waitcnt vmcnt(4) lgkmcnt(3)
	v_mul_f32_e32 v125, v59, v94
	v_mul_f32_e32 v126, v58, v94
	s_waitcnt vmcnt(3) lgkmcnt(2)
	v_mul_f32_e32 v127, v61, v96
	v_mul_f32_e32 v131, v60, v96
	v_fma_f32 v58, v58, v93, -v125
	v_fmac_f32_e32 v126, v59, v93
	v_fma_f32 v60, v60, v95, -v127
	v_fmac_f32_e32 v131, v61, v95
	s_waitcnt vmcnt(2)
	v_mul_f32_e32 v132, v63, v100
	v_mul_f32_e32 v133, v62, v100
	s_waitcnt vmcnt(1) lgkmcnt(1)
	v_mul_f32_e32 v134, v65, v98
	v_mul_f32_e32 v135, v64, v98
	s_waitcnt vmcnt(0)
	v_mul_f32_e32 v136, v67, v102
	v_mul_f32_e32 v137, v66, v102
	v_fma_f32 v62, v62, v99, -v132
	v_fmac_f32_e32 v133, v63, v99
	v_fma_f32 v64, v64, v97, -v134
	v_fmac_f32_e32 v135, v65, v97
	;; [unrolled: 2-line block ×3, first 2 shown]
	v_sub_f32_e32 v58, v52, v58
	v_sub_f32_e32 v59, v53, v126
	;; [unrolled: 1-line block ×4, first 2 shown]
	s_waitcnt lgkmcnt(0)
	v_sub_f32_e32 v62, v68, v62
	v_sub_f32_e32 v63, v69, v133
	;; [unrolled: 1-line block ×6, first 2 shown]
	v_fma_f32 v52, v52, 2.0, -v58
	v_fma_f32 v53, v53, 2.0, -v59
	;; [unrolled: 1-line block ×10, first 2 shown]
	ds_write_b64 v108, v[58:59] offset:7280
	ds_write2_b64 v108, v[52:53], v[54:55] offset1:182
	ds_write2_b64 v116, v[60:61], v[62:63] offset0:68 offset1:250
	ds_write2_b64 v129, v[68:69], v[70:71] offset0:44 offset1:226
	ds_write_b64 v108, v[56:57] offset:5824
	ds_write2_b64 v130, v[64:65], v[66:67] offset0:48 offset1:230
	s_waitcnt lgkmcnt(0)
	s_barrier
	buffer_gl0_inv
	s_clause 0x3
	global_load_dwordx2 v[56:57], v[119:120], off offset:224
	global_load_dwordx2 v[68:69], v[121:122], off offset:1088
	;; [unrolled: 1-line block ×4, first 2 shown]
	v_add_co_u32 v52, s1, 0x5000, v111
	v_add_co_ci_u32_e64 v53, s1, 0, v112, s1
	v_add_co_u32 v54, s1, 0x5800, v111
	v_add_co_ci_u32_e64 v55, s1, 0, v112, s1
	;; [unrolled: 2-line block ×3, first 2 shown]
	s_clause 0x2
	global_load_dwordx2 v[117:118], v[123:124], off offset:1952
	global_load_dwordx2 v[119:120], v[52:53], off offset:1360
	global_load_dwordx2 v[121:122], v[54:55], off offset:768
	v_add_co_u32 v52, s1, 0x6800, v111
	v_add_co_ci_u32_e64 v53, s1, 0, v112, s1
	s_clause 0x2
	global_load_dwordx2 v[111:112], v[60:61], off offset:176
	global_load_dwordx2 v[123:124], v[60:61], off offset:1632
	;; [unrolled: 1-line block ×3, first 2 shown]
	ds_read2_b64 v[52:55], v108 offset1:182
	s_waitcnt vmcnt(9) lgkmcnt(0)
	v_mul_f32_e32 v61, v53, v57
	v_mul_f32_e32 v60, v52, v57
	s_waitcnt vmcnt(6)
	v_mul_f32_e32 v62, v55, v59
	v_mul_f32_e32 v57, v54, v59
	v_fma_f32 v59, v52, v56, -v61
	v_fmac_f32_e32 v60, v53, v56
	v_fma_f32 v56, v54, v58, -v62
	v_fmac_f32_e32 v57, v55, v58
	ds_write2_b64 v108, v[59:60], v[56:57] offset1:182
	ds_read2_b64 v[52:55], v129 offset0:44 offset1:226
	ds_read2_b64 v[56:59], v128 offset0:24 offset1:206
	;; [unrolled: 1-line block ×4, first 2 shown]
	s_waitcnt lgkmcnt(3)
	v_mul_f32_e32 v131, v53, v69
	v_mul_f32_e32 v127, v52, v69
	;; [unrolled: 1-line block ×4, first 2 shown]
	s_waitcnt vmcnt(5) lgkmcnt(2)
	v_mul_f32_e32 v133, v57, v118
	v_mul_f32_e32 v71, v56, v118
	s_waitcnt vmcnt(4)
	v_mul_f32_e32 v134, v59, v120
	v_mul_f32_e32 v118, v58, v120
	s_waitcnt vmcnt(3) lgkmcnt(1)
	v_mul_f32_e32 v135, v61, v122
	v_mul_f32_e32 v120, v60, v122
	s_waitcnt vmcnt(2)
	v_mul_f32_e32 v136, v63, v112
	v_mul_f32_e32 v122, v62, v112
	;; [unrolled: 6-line block ×3, first 2 shown]
	v_fma_f32 v126, v52, v68, -v131
	v_fmac_f32_e32 v127, v53, v68
	v_fma_f32 v68, v54, v70, -v132
	v_fmac_f32_e32 v69, v55, v70
	;; [unrolled: 2-line block ×8, first 2 shown]
	ds_write2_b64 v129, v[126:127], v[68:69] offset0:44 offset1:226
	ds_write2_b64 v128, v[70:71], v[117:118] offset0:24 offset1:206
	;; [unrolled: 1-line block ×4, first 2 shown]
	s_waitcnt lgkmcnt(0)
	s_barrier
	buffer_gl0_inv
	ds_read2_b64 v[52:55], v108 offset1:182
	ds_read2_b64 v[56:59], v129 offset0:44 offset1:226
	ds_read2_b64 v[60:63], v128 offset0:24 offset1:206
	;; [unrolled: 1-line block ×4, first 2 shown]
	s_waitcnt lgkmcnt(0)
	s_barrier
	buffer_gl0_inv
	v_add_f32_e32 v111, v52, v56
	v_sub_f32_e32 v119, v56, v60
	v_add_f32_e32 v112, v60, v64
	v_sub_f32_e32 v117, v57, v69
	v_sub_f32_e32 v120, v68, v64
	v_add_f32_e32 v121, v56, v68
	v_sub_f32_e32 v122, v60, v56
	v_sub_f32_e32 v123, v64, v68
	v_add_f32_e32 v124, v53, v57
	v_add_f32_e32 v125, v61, v65
	v_sub_f32_e32 v127, v57, v61
	v_add_f32_e32 v129, v57, v69
	v_sub_f32_e32 v57, v61, v57
	v_sub_f32_e32 v130, v65, v69
	v_add_f32_e32 v131, v54, v58
	v_add_f32_e32 v132, v62, v66
	v_add_f32_e32 v140, v55, v59
	v_add_f32_e32 v141, v63, v67
	v_add_f32_e32 v145, v59, v71
	v_sub_f32_e32 v126, v60, v64
	v_sub_f32_e32 v133, v59, v71
	v_sub_f32_e32 v134, v63, v67
	v_sub_f32_e32 v135, v58, v62
	v_add_f32_e32 v137, v58, v70
	v_sub_f32_e32 v138, v62, v58
	v_sub_f32_e32 v58, v58, v70
	;; [unrolled: 1-line block ×5, first 2 shown]
	v_add_f32_e32 v60, v111, v60
	v_fma_f32 v111, -0.5, v112, v52
	v_add_f32_e32 v112, v119, v120
	v_fma_f32 v119, -0.5, v121, v52
	;; [unrolled: 2-line block ×3, first 2 shown]
	v_fma_f32 v122, -0.5, v129, v53
	v_add_f32_e32 v53, v57, v130
	v_add_f32_e32 v57, v131, v62
	v_fma_f32 v123, -0.5, v132, v54
	v_add_f32_e32 v63, v140, v63
	v_fma_f32 v125, -0.5, v141, v55
	v_fmac_f32_e32 v55, -0.5, v145
	v_sub_f32_e32 v118, v61, v65
	v_sub_f32_e32 v56, v56, v68
	;; [unrolled: 1-line block ×7, first 2 shown]
	v_add_f32_e32 v61, v124, v61
	v_fma_f32 v54, -0.5, v137, v54
	v_add_f32_e32 v57, v57, v66
	v_fmamk_f32 v66, v133, 0xbf737871, v123
	v_add_f32_e32 v63, v63, v67
	v_fmamk_f32 v67, v58, 0x3f737871, v125
	v_fmac_f32_e32 v125, 0xbf737871, v58
	v_fmamk_f32 v131, v142, 0xbf737871, v55
	v_fmac_f32_e32 v55, 0x3f737871, v142
	v_add_f32_e32 v121, v127, v128
	v_add_f32_e32 v62, v135, v136
	;; [unrolled: 1-line block ×5, first 2 shown]
	v_fmamk_f32 v64, v117, 0xbf737871, v111
	v_fmac_f32_e32 v111, 0x3f737871, v117
	v_fmamk_f32 v128, v118, 0x3f737871, v119
	v_fmac_f32_e32 v119, 0xbf737871, v118
	v_add_f32_e32 v61, v61, v65
	v_fmamk_f32 v65, v56, 0x3f737871, v120
	v_fmac_f32_e32 v120, 0xbf737871, v56
	v_fmamk_f32 v129, v126, 0xbf737871, v122
	v_fmac_f32_e32 v122, 0x3f737871, v126
	v_fmac_f32_e32 v123, 0x3f737871, v133
	v_fmamk_f32 v130, v134, 0x3f737871, v54
	v_fmac_f32_e32 v54, 0xbf737871, v134
	v_fmac_f32_e32 v66, 0xbf167918, v134
	;; [unrolled: 1-line block ×6, first 2 shown]
	v_add_f32_e32 v124, v138, v139
	v_add_f32_e32 v60, v60, v68
	v_fmac_f32_e32 v64, 0xbf167918, v118
	v_fmac_f32_e32 v111, 0x3f167918, v118
	;; [unrolled: 1-line block ×4, first 2 shown]
	v_add_f32_e32 v61, v61, v69
	v_fmac_f32_e32 v65, 0x3f167918, v126
	v_fmac_f32_e32 v120, 0xbf167918, v126
	;; [unrolled: 1-line block ×4, first 2 shown]
	v_add_f32_e32 v56, v57, v70
	v_fmac_f32_e32 v123, 0x3f167918, v134
	v_fmac_f32_e32 v130, 0xbf167918, v133
	;; [unrolled: 1-line block ×3, first 2 shown]
	v_add_f32_e32 v57, v63, v71
	v_fmac_f32_e32 v66, 0x3e9e377a, v62
	v_fmac_f32_e32 v67, 0x3e9e377a, v127
	;; [unrolled: 1-line block ×16, first 2 shown]
	v_add_f32_e32 v52, v60, v56
	v_add_f32_e32 v53, v61, v57
	v_sub_f32_e32 v62, v60, v56
	v_sub_f32_e32 v63, v61, v57
	v_mul_f32_e32 v56, 0xbf167918, v67
	v_mul_f32_e32 v57, 0xbf737871, v131
	;; [unrolled: 1-line block ×8, first 2 shown]
	v_fmac_f32_e32 v56, 0x3f4f1bbd, v66
	v_fmac_f32_e32 v57, 0x3e9e377a, v130
	;; [unrolled: 1-line block ×8, first 2 shown]
	v_add_f32_e32 v54, v64, v56
	v_add_f32_e32 v68, v128, v57
	v_add_f32_e32 v70, v119, v58
	v_add_f32_e32 v60, v111, v59
	v_add_f32_e32 v55, v65, v112
	v_add_f32_e32 v69, v129, v117
	v_add_f32_e32 v71, v122, v118
	v_add_f32_e32 v61, v120, v121
	v_sub_f32_e32 v64, v64, v56
	v_sub_f32_e32 v66, v128, v57
	;; [unrolled: 1-line block ×8, first 2 shown]
	ds_write_b128 v113, v[52:55]
	ds_write_b128 v113, v[68:71] offset:16
	ds_write_b128 v113, v[60:63] offset:32
	;; [unrolled: 1-line block ×4, first 2 shown]
	s_waitcnt lgkmcnt(0)
	s_barrier
	buffer_gl0_inv
	s_and_saveexec_b32 s1, vcc_lo
	s_cbranch_execz .LBB0_11
; %bb.10:
	v_add_nc_u32_e32 v48, 0x800, v108
	v_add_nc_u32_e32 v49, 0x1000, v108
	;; [unrolled: 1-line block ×4, first 2 shown]
	ds_read2_b64 v[52:55], v108 offset1:140
	ds_read2_b64 v[68:71], v48 offset0:24 offset1:164
	ds_read2_b64 v[60:63], v49 offset0:48 offset1:188
	;; [unrolled: 1-line block ×5, first 2 shown]
	ds_read_b64 v[105:106], v108 offset:13440
.LBB0_11:
	s_or_b32 exec_lo, exec_lo, s1
	s_waitcnt lgkmcnt(6)
	v_mul_f32_e32 v111, v21, v55
	v_mul_f32_e32 v112, v21, v54
	s_waitcnt lgkmcnt(5)
	v_mul_f32_e32 v21, v23, v69
	v_mul_f32_e32 v23, v23, v68
	s_waitcnt lgkmcnt(0)
	v_fmac_f32_e32 v111, v20, v54
	v_fma_f32 v112, v20, v55, -v112
	v_mul_f32_e32 v20, v17, v71
	v_mul_f32_e32 v54, v17, v70
	;; [unrolled: 1-line block ×3, first 2 shown]
	v_fmac_f32_e32 v21, v22, v68
	v_fma_f32 v55, v22, v69, -v23
	v_mul_f32_e32 v22, v19, v60
	v_fmac_f32_e32 v20, v16, v70
	v_fma_f32 v54, v16, v71, -v54
	v_fmac_f32_e32 v17, v18, v60
	v_mul_f32_e32 v16, v9, v63
	v_fma_f32 v68, v18, v61, -v22
	v_mul_f32_e32 v18, v5, v67
	v_mul_f32_e32 v5, v5, v66
	;; [unrolled: 1-line block ×3, first 2 shown]
	v_fmac_f32_e32 v16, v8, v62
	v_mul_f32_e32 v22, v7, v57
	v_mul_f32_e32 v7, v7, v56
	;; [unrolled: 1-line block ×3, first 2 shown]
	v_fmac_f32_e32 v18, v4, v66
	v_fma_f32 v62, v4, v67, -v5
	v_mul_f32_e32 v4, v3, v105
	v_mul_f32_e32 v5, v13, v58
	v_fmac_f32_e32 v22, v6, v56
	v_fma_f32 v56, v6, v57, -v7
	v_fmac_f32_e32 v23, v12, v58
	v_mul_f32_e32 v57, v15, v49
	v_mul_f32_e32 v13, v3, v106
	;; [unrolled: 1-line block ×3, first 2 shown]
	v_fma_f32 v15, v2, v106, -v4
	v_fma_f32 v58, v12, v59, -v5
	v_mul_f32_e32 v12, v1, v51
	v_mul_f32_e32 v1, v1, v50
	;; [unrolled: 1-line block ×3, first 2 shown]
	v_fmac_f32_e32 v57, v14, v48
	v_fmac_f32_e32 v13, v2, v105
	v_fma_f32 v14, v14, v49, -v3
	v_sub_f32_e32 v2, v112, v15
	v_add_f32_e32 v3, v15, v112
	v_fma_f32 v48, v0, v51, -v1
	v_mul_f32_e32 v11, v11, v64
	v_fmac_f32_e32 v19, v10, v64
	v_add_f32_e32 v141, v13, v111
	v_sub_f32_e32 v142, v111, v13
	v_mul_f32_e32 v49, 0xbeedf032, v2
	v_mul_f32_e32 v59, 0x3f62ad3f, v3
	v_fmac_f32_e32 v12, v0, v50
	v_mul_f32_e32 v64, 0x3f116cb1, v3
	v_mul_f32_e32 v70, 0x3df6dbef, v3
	;; [unrolled: 1-line block ×5, first 2 shown]
	v_sub_f32_e32 v3, v55, v48
	v_fma_f32 v60, v10, v65, -v11
	v_fma_f32 v4, 0x3f62ad3f, v141, -v49
	v_add_f32_e32 v152, v12, v21
	v_fmamk_f32 v51, v142, 0xbe750f2a, v138
	v_mul_f32_e32 v50, 0xbf52af12, v3
	v_add_f32_e32 v65, v48, v55
	v_fma_f32 v61, v8, v63, -v9
	v_mul_f32_e32 v63, 0xbf52af12, v2
	v_fmamk_f32 v5, v142, 0xbeedf032, v59
	v_add_f32_e32 v0, v52, v4
	v_add_f32_e32 v105, v53, v51
	v_fma_f32 v66, 0x3f116cb1, v152, -v50
	v_sub_f32_e32 v154, v21, v12
	v_mul_f32_e32 v51, 0x3f116cb1, v65
	v_fma_f32 v6, 0x3f116cb1, v141, -v63
	v_add_f32_e32 v1, v53, v5
	v_mul_f32_e32 v106, 0xbf6f5d39, v2
	v_fmamk_f32 v7, v142, 0xbf7e222b, v70
	v_mul_f32_e32 v122, 0xbf29c268, v2
	v_mul_f32_e32 v69, 0xbf6f5d39, v3
	v_add_f32_e32 v0, v66, v0
	v_fmamk_f32 v66, v154, 0xbf52af12, v51
	v_mul_f32_e32 v119, 0xbf788fa5, v65
	v_add_f32_e32 v5, v52, v6
	v_fma_f32 v8, 0xbeb58ec6, v141, -v106
	v_fmamk_f32 v9, v142, 0xbf6f5d39, v118
	v_add_f32_e32 v7, v53, v7
	v_fma_f32 v10, 0xbf3f9e67, v141, -v122
	v_mul_f32_e32 v132, 0xbe750f2a, v2
	v_fma_f32 v113, 0xbeb58ec6, v152, -v69
	v_add_f32_e32 v1, v66, v1
	v_fmamk_f32 v66, v154, 0xbe750f2a, v119
	v_mul_f32_e32 v124, 0x3f29c268, v3
	v_mul_f32_e32 v129, 0xbf3f9e67, v65
	v_fmamk_f32 v4, v142, 0xbf52af12, v64
	v_mul_f32_e32 v67, 0xbf7e222b, v2
	v_add_f32_e32 v8, v52, v8
	v_add_f32_e32 v9, v53, v9
	;; [unrolled: 1-line block ×3, first 2 shown]
	v_fmamk_f32 v10, v142, 0xbf29c268, v127
	v_fma_f32 v11, 0xbf788fa5, v141, -v132
	v_mul_f32_e32 v71, 0xbeb58ec6, v65
	v_add_f32_e32 v5, v113, v5
	v_add_f32_e32 v7, v66, v7
	v_mul_f32_e32 v139, 0x3df6dbef, v65
	v_fma_f32 v66, 0xbf3f9e67, v152, -v124
	v_fmamk_f32 v113, v154, 0x3f29c268, v129
	v_mul_f32_e32 v147, 0x3eedf032, v3
	v_add_f32_e32 v4, v53, v4
	v_fma_f32 v6, 0x3df6dbef, v141, -v67
	v_add_f32_e32 v10, v53, v10
	v_add_f32_e32 v11, v52, v11
	v_mul_f32_e32 v116, 0xbe750f2a, v3
	v_fmamk_f32 v117, v154, 0xbf6f5d39, v71
	v_mul_f32_e32 v135, 0x3f7e222b, v3
	v_fmamk_f32 v3, v154, 0x3f7e222b, v139
	v_add_f32_e32 v8, v66, v8
	v_add_f32_e32 v9, v113, v9
	v_fma_f32 v66, 0x3f62ad3f, v152, -v147
	v_add_f32_e32 v113, v14, v54
	v_add_f32_e32 v6, v52, v6
	v_fma_f32 v120, 0xbf788fa5, v152, -v116
	v_add_f32_e32 v4, v117, v4
	v_fma_f32 v117, 0x3df6dbef, v152, -v135
	v_add_f32_e32 v3, v3, v10
	v_mul_f32_e32 v151, 0x3f62ad3f, v65
	v_sub_f32_e32 v10, v54, v14
	v_add_f32_e32 v11, v66, v11
	v_sub_f32_e32 v163, v20, v57
	v_mul_f32_e32 v66, 0x3df6dbef, v113
	v_add_f32_e32 v6, v120, v6
	v_add_f32_e32 v2, v117, v2
	;; [unrolled: 1-line block ×3, first 2 shown]
	v_mul_f32_e32 v65, 0xbf7e222b, v10
	v_fmamk_f32 v120, v154, 0x3eedf032, v151
	v_mul_f32_e32 v117, 0xbe750f2a, v10
	v_fmamk_f32 v125, v163, 0xbf7e222b, v66
	v_mul_f32_e32 v150, 0x3f116cb1, v113
	v_mul_f32_e32 v121, 0xbf788fa5, v113
	v_fma_f32 v123, 0x3df6dbef, v162, -v65
	v_add_f32_e32 v120, v120, v105
	v_fma_f32 v105, 0xbf788fa5, v162, -v117
	v_add_f32_e32 v1, v125, v1
	v_mul_f32_e32 v125, 0x3f6f5d39, v10
	v_mul_f32_e32 v128, 0xbeb58ec6, v113
	;; [unrolled: 1-line block ×5, first 2 shown]
	v_fmamk_f32 v10, v163, 0xbf52af12, v150
	v_fmamk_f32 v126, v163, 0xbe750f2a, v121
	v_add_f32_e32 v0, v123, v0
	v_add_f32_e32 v5, v105, v5
	v_fma_f32 v105, 0xbeb58ec6, v162, -v125
	v_mul_f32_e32 v144, 0x3f62ad3f, v113
	v_fmamk_f32 v123, v163, 0x3f6f5d39, v128
	v_add_f32_e32 v3, v10, v3
	v_add_f32_e32 v10, v58, v68
	;; [unrolled: 1-line block ×3, first 2 shown]
	v_fma_f32 v126, 0x3f62ad3f, v162, -v134
	v_add_f32_e32 v6, v105, v6
	v_fmamk_f32 v105, v163, 0x3eedf032, v144
	v_add_f32_e32 v7, v123, v7
	v_sub_f32_e32 v123, v68, v58
	v_mul_f32_e32 v165, 0xbf3f9e67, v113
	v_fma_f32 v113, 0xbf3f9e67, v162, -v160
	v_sub_f32_e32 v173, v17, v23
	v_mul_f32_e32 v131, 0xbf3f9e67, v10
	v_fma_f32 v130, 0x3f116cb1, v162, -v146
	v_add_f32_e32 v8, v126, v8
	v_add_f32_e32 v9, v105, v9
	;; [unrolled: 1-line block ×3, first 2 shown]
	v_mul_f32_e32 v105, 0xbf6f5d39, v123
	v_fmamk_f32 v126, v163, 0xbf29c268, v165
	v_add_f32_e32 v11, v113, v11
	v_mul_f32_e32 v113, 0xbeb58ec6, v10
	v_fmamk_f32 v136, v173, 0x3f29c268, v131
	v_mul_f32_e32 v168, 0x3f52af12, v123
	v_add_f32_e32 v2, v130, v2
	v_fma_f32 v130, 0xbeb58ec6, v171, -v105
	v_add_f32_e32 v133, v126, v120
	v_mul_f32_e32 v120, 0x3f29c268, v123
	v_fmamk_f32 v126, v173, 0xbf6f5d39, v113
	v_mul_f32_e32 v137, 0x3eedf032, v123
	v_add_f32_e32 v4, v136, v4
	v_fma_f32 v136, 0x3f116cb1, v171, -v168
	v_add_f32_e32 v0, v130, v0
	v_mul_f32_e32 v143, 0x3f62ad3f, v10
	v_fma_f32 v130, 0xbf3f9e67, v171, -v120
	v_add_f32_e32 v1, v126, v1
	v_fma_f32 v126, 0x3f62ad3f, v171, -v137
	v_mul_f32_e32 v148, 0xbf7e222b, v123
	v_mul_f32_e32 v155, 0x3df6dbef, v10
	;; [unrolled: 1-line block ×5, first 2 shown]
	v_add_f32_e32 v10, v136, v11
	v_add_f32_e32 v136, v56, v61
	v_fmamk_f32 v140, v173, 0x3eedf032, v143
	v_add_f32_e32 v5, v130, v5
	v_add_f32_e32 v6, v126, v6
	v_fma_f32 v126, 0x3df6dbef, v171, -v148
	v_fmamk_f32 v123, v173, 0xbf7e222b, v155
	v_fma_f32 v130, 0xbf788fa5, v171, -v158
	v_sub_f32_e32 v11, v61, v56
	v_sub_f32_e32 v178, v16, v22
	v_mul_f32_e32 v145, 0x3df6dbef, v136
	v_add_f32_e32 v7, v140, v7
	v_add_f32_e32 v8, v126, v8
	v_fmamk_f32 v126, v173, 0x3e750f2a, v161
	v_add_f32_e32 v9, v123, v9
	v_add_f32_e32 v2, v130, v2
	v_fmamk_f32 v140, v173, 0x3f52af12, v172
	v_add_f32_e32 v177, v22, v16
	v_mul_f32_e32 v123, 0xbf29c268, v11
	v_mul_f32_e32 v130, 0x3f7e222b, v11
	v_fmamk_f32 v157, v178, 0x3f7e222b, v145
	v_add_f32_e32 v3, v126, v3
	v_mul_f32_e32 v126, 0xbf3f9e67, v136
	v_add_f32_e32 v140, v140, v133
	v_fma_f32 v133, 0xbf3f9e67, v177, -v123
	v_fma_f32 v156, 0x3df6dbef, v177, -v130
	v_add_f32_e32 v174, v157, v4
	v_mul_f32_e32 v157, 0x3e750f2a, v11
	v_mul_f32_e32 v166, 0xbf788fa5, v136
	;; [unrolled: 1-line block ×3, first 2 shown]
	v_fmamk_f32 v153, v178, 0xbf29c268, v126
	v_mul_f32_e32 v149, 0xbf52af12, v11
	v_add_f32_e32 v0, v133, v0
	v_add_f32_e32 v5, v156, v5
	v_fma_f32 v133, 0xbf788fa5, v177, -v157
	v_fmamk_f32 v156, v178, 0x3e750f2a, v166
	v_fma_f32 v159, 0x3f62ad3f, v177, -v169
	v_mul_f32_e32 v170, 0x3f62ad3f, v136
	v_sub_f32_e32 v183, v60, v62
	v_mul_f32_e32 v176, 0xbf6f5d39, v11
	v_add_f32_e32 v11, v62, v60
	v_mul_f32_e32 v181, 0xbeb58ec6, v136
	v_add_f32_e32 v1, v153, v1
	v_fma_f32 v4, 0x3f116cb1, v177, -v149
	v_mul_f32_e32 v153, 0x3f116cb1, v136
	v_add_f32_e32 v8, v133, v8
	v_add_f32_e32 v9, v156, v9
	;; [unrolled: 1-line block ×3, first 2 shown]
	v_fmamk_f32 v2, v178, 0x3eedf032, v170
	v_add_f32_e32 v182, v18, v19
	v_mul_f32_e32 v133, 0xbe750f2a, v183
	v_sub_f32_e32 v180, v19, v18
	v_mul_f32_e32 v136, 0xbf788fa5, v11
	v_fmamk_f32 v156, v178, 0xbf6f5d39, v181
	v_add_f32_e32 v6, v4, v6
	v_fmamk_f32 v4, v178, 0xbf52af12, v153
	v_fma_f32 v159, 0xbf788fa5, v182, -v133
	v_add_f32_e32 v186, v2, v3
	v_fmamk_f32 v3, v180, 0xbe750f2a, v136
	v_add_f32_e32 v188, v156, v140
	v_mul_f32_e32 v140, 0x3eedf032, v183
	v_mul_f32_e32 v156, 0x3f62ad3f, v11
	;; [unrolled: 1-line block ×3, first 2 shown]
	v_add_f32_e32 v7, v4, v7
	v_fma_f32 v4, 0xbeb58ec6, v177, -v176
	v_add_f32_e32 v2, v159, v0
	v_add_f32_e32 v3, v3, v1
	v_fma_f32 v0, 0x3f62ad3f, v182, -v140
	v_mul_f32_e32 v167, 0x3f52af12, v183
	v_fmamk_f32 v1, v180, 0x3eedf032, v156
	v_fmamk_f32 v175, v180, 0xbf29c268, v164
	v_add_f32_e32 v187, v4, v10
	v_mul_f32_e32 v159, 0xbf29c268, v183
	v_add_f32_e32 v4, v0, v5
	v_fma_f32 v0, 0x3f116cb1, v182, -v167
	v_add_f32_e32 v5, v1, v174
	v_add_f32_e32 v7, v175, v7
	v_mul_f32_e32 v174, 0x3f116cb1, v11
	v_mul_f32_e32 v175, 0xbf6f5d39, v183
	;; [unrolled: 1-line block ×5, first 2 shown]
	v_fma_f32 v10, 0xbf3f9e67, v182, -v159
	v_add_f32_e32 v8, v0, v8
	v_fmamk_f32 v0, v180, 0x3f52af12, v174
	v_fma_f32 v1, 0xbeb58ec6, v182, -v175
	v_fmamk_f32 v11, v180, 0xbf6f5d39, v179
	v_fma_f32 v189, 0x3df6dbef, v182, -v183
	v_fmamk_f32 v190, v180, 0x3f7e222b, v184
	v_add_f32_e32 v6, v10, v6
	v_add_f32_e32 v9, v0, v9
	;; [unrolled: 1-line block ×6, first 2 shown]
	s_barrier
	buffer_gl0_inv
	s_and_saveexec_b32 s1, vcc_lo
	s_cbranch_execz .LBB0_13
; %bb.12:
	v_mul_f32_e32 v186, 0xbeedf032, v142
	v_mul_f32_e32 v188, 0xbf52af12, v142
	;; [unrolled: 1-line block ×12, first 2 shown]
	v_sub_f32_e32 v138, v138, v142
	v_mul_f32_e32 v185, 0x3f62ad3f, v141
	v_mul_f32_e32 v187, 0x3f116cb1, v141
	;; [unrolled: 1-line block ×12, first 2 shown]
	v_add_f32_e32 v138, v53, v138
	v_sub_f32_e32 v151, v151, v154
	v_mul_f32_e32 v195, 0x3f116cb1, v152
	v_mul_f32_e32 v197, 0xbeb58ec6, v152
	;; [unrolled: 1-line block ×12, first 2 shown]
	v_add_f32_e32 v132, v141, v132
	v_add_f32_e32 v138, v151, v138
	v_sub_f32_e32 v141, v165, v163
	v_mul_f32_e32 v205, 0x3df6dbef, v162
	v_mul_f32_e32 v207, 0xbf788fa5, v162
	;; [unrolled: 1-line block ×12, first 2 shown]
	v_add_f32_e32 v132, v52, v132
	v_add_f32_e32 v147, v152, v147
	;; [unrolled: 1-line block ×3, first 2 shown]
	v_sub_f32_e32 v141, v172, v173
	v_sub_f32_e32 v127, v127, v194
	;; [unrolled: 1-line block ×3, first 2 shown]
	v_add_f32_e32 v132, v147, v132
	v_add_f32_e32 v147, v162, v160
	;; [unrolled: 1-line block ×3, first 2 shown]
	v_sub_f32_e32 v141, v181, v178
	v_mul_f32_e32 v160, 0x3f7e222b, v180
	v_add_f32_e32 v127, v53, v127
	v_add_f32_e32 v112, v112, v53
	v_add_f32_e32 v111, v52, v111
	v_add_f32_e32 v138, v141, v138
	v_sub_f32_e32 v141, v184, v160
	v_add_f32_e32 v160, v193, v122
	v_add_f32_e32 v127, v139, v127
	v_sub_f32_e32 v139, v150, v214
	v_add_f32_e32 v55, v55, v112
	v_add_f32_e32 v21, v21, v111
	;; [unrolled: 1-line block ×6, first 2 shown]
	v_sub_f32_e32 v139, v161, v224
	v_sub_f32_e32 v118, v118, v192
	v_add_f32_e32 v67, v189, v67
	v_sub_f32_e32 v59, v59, v186
	v_add_f32_e32 v54, v54, v55
	v_add_f32_e32 v20, v20, v21
	v_mul_f32_e32 v223, 0xbf788fa5, v171
	v_mul_f32_e32 v152, 0xbf6f5d39, v180
	v_add_f32_e32 v135, v135, v138
	v_add_f32_e32 v138, v213, v146
	;; [unrolled: 1-line block ×3, first 2 shown]
	v_sub_f32_e32 v139, v170, v234
	v_add_f32_e32 v118, v53, v118
	v_sub_f32_e32 v129, v129, v202
	v_add_f32_e32 v67, v52, v67
	v_add_f32_e32 v116, v199, v116
	;; [unrolled: 1-line block ×3, first 2 shown]
	v_sub_f32_e32 v51, v51, v196
	v_add_f32_e32 v54, v68, v54
	v_add_f32_e32 v17, v17, v20
	v_mul_f32_e32 v219, 0x3f62ad3f, v171
	v_mul_f32_e32 v233, 0x3f62ad3f, v177
	v_add_f32_e32 v135, v138, v135
	v_add_f32_e32 v138, v223, v158
	;; [unrolled: 1-line block ×3, first 2 shown]
	v_sub_f32_e32 v139, v179, v152
	v_add_f32_e32 v118, v129, v118
	v_sub_f32_e32 v129, v144, v212
	v_sub_f32_e32 v64, v64, v188
	v_add_f32_e32 v67, v116, v67
	v_add_f32_e32 v116, v209, v125
	;; [unrolled: 1-line block ×4, first 2 shown]
	v_sub_f32_e32 v49, v66, v206
	v_add_f32_e32 v51, v61, v54
	v_add_f32_e32 v16, v16, v17
	v_mul_f32_e32 v229, 0x3f116cb1, v177
	v_mul_f32_e32 v163, 0xbeb58ec6, v182
	v_add_f32_e32 v135, v138, v135
	v_add_f32_e32 v138, v233, v169
	;; [unrolled: 1-line block ×4, first 2 shown]
	v_sub_f32_e32 v127, v155, v222
	v_add_f32_e32 v64, v53, v64
	v_sub_f32_e32 v71, v71, v198
	v_add_f32_e32 v67, v116, v67
	v_add_f32_e32 v116, v219, v137
	v_add_f32_e32 v17, v52, v20
	v_add_f32_e32 v20, v195, v50
	v_add_f32_e32 v21, v49, v21
	v_add_f32_e32 v49, v60, v51
	v_add_f32_e32 v16, v19, v16
	v_mul_f32_e32 v154, 0xbf3f9e67, v182
	v_mul_f32_e32 v151, 0x3f52af12, v180
	v_add_f32_e32 v129, v138, v135
	v_add_f32_e32 v135, v163, v175
	;; [unrolled: 1-line block ×3, first 2 shown]
	v_sub_f32_e32 v127, v166, v232
	v_sub_f32_e32 v70, v70, v190
	v_add_f32_e32 v64, v71, v64
	v_sub_f32_e32 v71, v121, v208
	v_add_f32_e32 v67, v116, v67
	v_add_f32_e32 v116, v229, v149
	;; [unrolled: 1-line block ×4, first 2 shown]
	v_sub_f32_e32 v19, v113, v216
	v_add_f32_e32 v17, v20, v17
	v_add_f32_e32 v20, v205, v65
	;; [unrolled: 1-line block ×6, first 2 shown]
	v_sub_f32_e32 v127, v174, v151
	v_add_f32_e32 v129, v53, v70
	v_sub_f32_e32 v119, v119, v200
	v_add_f32_e32 v64, v71, v64
	;; [unrolled: 2-line block ×3, first 2 shown]
	v_add_f32_e32 v116, v154, v159
	v_add_f32_e32 v121, v52, v63
	v_add_f32_e32 v69, v197, v69
	v_add_f32_e32 v106, v52, v106
	v_add_f32_e32 v124, v201, v124
	v_mul_f32_e32 v215, 0xbeb58ec6, v171
	v_add_f32_e32 v18, v19, v21
	v_sub_f32_e32 v19, v126, v226
	v_add_f32_e32 v17, v20, v17
	v_add_f32_e32 v20, v56, v49
	;; [unrolled: 1-line block ×3, first 2 shown]
	v_mul_f32_e32 v217, 0xbf3f9e67, v171
	v_mul_f32_e32 v237, 0x3eedf032, v180
	v_add_f32_e32 v70, v127, v118
	v_add_f32_e32 v118, v119, v129
	v_sub_f32_e32 v119, v128, v210
	v_add_f32_e32 v71, v71, v64
	v_sub_f32_e32 v125, v145, v228
	v_add_f32_e32 v63, v116, v67
	v_add_f32_e32 v67, v69, v121
	;; [unrolled: 1-line block ×3, first 2 shown]
	v_mul_f32_e32 v221, 0x3df6dbef, v171
	v_add_f32_e32 v106, v124, v106
	v_add_f32_e32 v124, v211, v134
	v_mul_f32_e32 v171, 0x3f116cb1, v171
	v_mul_f32_e32 v225, 0xbf3f9e67, v177
	v_add_f32_e32 v21, v215, v105
	v_add_f32_e32 v18, v19, v18
	v_add_f32_e32 v19, v58, v20
	v_add_f32_e32 v16, v23, v16
	v_mul_f32_e32 v227, 0x3df6dbef, v177
	v_add_f32_e32 v118, v119, v118
	v_sub_f32_e32 v119, v143, v220
	v_add_f32_e32 v71, v125, v71
	v_sub_f32_e32 v116, v156, v237
	v_add_f32_e32 v69, v69, v67
	v_add_f32_e32 v117, v217, v120
	v_mul_f32_e32 v231, 0xbf788fa5, v177
	v_add_f32_e32 v106, v124, v106
	v_add_f32_e32 v124, v221, v148
	v_mul_f32_e32 v177, 0xbeb58ec6, v177
	;; [unrolled: 3-line block ×3, first 2 shown]
	v_mul_f32_e32 v235, 0xbe750f2a, v180
	v_add_f32_e32 v17, v21, v17
	v_add_f32_e32 v20, v225, v123
	;; [unrolled: 1-line block ×4, first 2 shown]
	v_mov_b32_e32 v19, 0x82
	v_mul_f32_e32 v236, 0x3f62ad3f, v182
	v_mul_f32_e32 v238, 0xbf29c268, v180
	v_add_f32_e32 v118, v119, v118
	v_sub_f32_e32 v119, v153, v230
	v_add_f32_e32 v67, v116, v71
	v_add_f32_e32 v69, v117, v69
	;; [unrolled: 1-line block ×3, first 2 shown]
	v_mul_f32_e32 v239, 0x3f116cb1, v182
	v_add_f32_e32 v106, v124, v106
	v_add_f32_e32 v124, v231, v157
	v_mul_f32_e32 v165, 0x3df6dbef, v182
	v_add_f32_e32 v132, v147, v132
	v_add_f32_e32 v147, v177, v176
	v_sub_f32_e32 v21, v136, v235
	v_add_f32_e32 v20, v20, v17
	v_add_f32_e32 v23, v142, v133
	;; [unrolled: 1-line block ×4, first 2 shown]
	v_mul_u32_u24_sdwa v19, v110, v19 dst_sel:DWORD dst_unused:UNUSED_PAD src0_sel:WORD_0 src1_sel:DWORD
	v_add_f32_e32 v118, v119, v118
	v_sub_f32_e32 v119, v164, v238
	v_add_f32_e32 v53, v71, v69
	v_add_f32_e32 v22, v236, v140
	;; [unrolled: 1-line block ×10, first 2 shown]
	v_add_lshl_u32 v12, v19, v109, 3
	v_add_f32_e32 v64, v119, v118
	v_add_f32_e32 v66, v22, v53
	;; [unrolled: 1-line block ×4, first 2 shown]
	ds_write2_b64 v12, v[13:14], v[16:17] offset1:10
	ds_write2_b64 v12, v[66:67], v[63:64] offset0:20 offset1:30
	ds_write2_b64 v12, v[69:70], v[138:139] offset0:40 offset1:50
	ds_write2_b64 v12, v[121:122], v[0:1] offset0:60 offset1:70
	ds_write2_b64 v12, v[10:11], v[8:9] offset0:80 offset1:90
	ds_write2_b64 v12, v[6:7], v[4:5] offset0:100 offset1:110
	ds_write_b64 v12, v[2:3] offset:960
.LBB0_13:
	s_or_b32 exec_lo, exec_lo, s1
	s_waitcnt lgkmcnt(0)
	s_barrier
	buffer_gl0_inv
	ds_read_b64 v[12:13], v108
	ds_read_b64 v[48:49], v108 offset:2080
	ds_read_b64 v[22:23], v108 offset:4160
	;; [unrolled: 1-line block ×6, first 2 shown]
	s_and_saveexec_b32 s1, s0
	s_cbranch_execz .LBB0_15
; %bb.14:
	ds_read_b64 v[0:1], v108 offset:1456
	ds_read_b64 v[10:11], v108 offset:3536
	;; [unrolled: 1-line block ×7, first 2 shown]
.LBB0_15:
	s_or_b32 exec_lo, exec_lo, s1
	s_waitcnt lgkmcnt(5)
	v_mul_f32_e32 v50, v45, v49
	v_mul_f32_e32 v45, v45, v48
	s_waitcnt lgkmcnt(4)
	v_mul_f32_e32 v51, v47, v23
	v_mul_f32_e32 v47, v47, v22
	s_waitcnt lgkmcnt(0)
	v_fmac_f32_e32 v50, v44, v48
	v_fma_f32 v44, v44, v49, -v45
	v_mul_f32_e32 v45, v41, v21
	v_mul_f32_e32 v41, v41, v20
	;; [unrolled: 1-line block ×3, first 2 shown]
	v_fmac_f32_e32 v51, v46, v22
	v_fma_f32 v22, v46, v23, -v47
	v_fmac_f32_e32 v45, v40, v20
	v_fma_f32 v20, v40, v21, -v41
	v_mul_f32_e32 v21, v39, v19
	v_mul_f32_e32 v23, v39, v18
	;; [unrolled: 1-line block ×4, first 2 shown]
	v_fmac_f32_e32 v48, v42, v16
	v_mul_f32_e32 v16, v43, v16
	v_fmac_f32_e32 v21, v38, v18
	v_fma_f32 v18, v38, v19, -v23
	v_fmac_f32_e32 v39, v36, v14
	v_fma_f32 v14, v36, v15, -v37
	v_fma_f32 v16, v42, v17, -v16
	v_add_f32_e32 v15, v50, v21
	v_add_f32_e32 v17, v44, v18
	v_sub_f32_e32 v19, v50, v21
	v_add_f32_e32 v21, v51, v39
	v_add_f32_e32 v23, v22, v14
	v_sub_f32_e32 v36, v51, v39
	v_sub_f32_e32 v14, v22, v14
	v_add_f32_e32 v22, v45, v48
	v_add_f32_e32 v37, v20, v16
	v_sub_f32_e32 v38, v48, v45
	;; [unrolled: 4-line block ×3, first 2 shown]
	v_sub_f32_e32 v40, v21, v15
	v_sub_f32_e32 v41, v23, v17
	;; [unrolled: 1-line block ×6, first 2 shown]
	v_add_f32_e32 v42, v38, v36
	v_add_f32_e32 v43, v16, v14
	v_sub_f32_e32 v44, v38, v36
	v_sub_f32_e32 v45, v16, v14
	v_add_f32_e32 v20, v22, v20
	v_add_f32_e32 v22, v37, v39
	v_sub_f32_e32 v36, v36, v19
	v_sub_f32_e32 v14, v14, v18
	v_sub_f32_e32 v38, v19, v38
	v_sub_f32_e32 v16, v18, v16
	v_add_f32_e32 v19, v42, v19
	v_add_f32_e32 v18, v43, v18
	;; [unrolled: 1-line block ×4, first 2 shown]
	v_mul_f32_e32 v15, 0x3f4a47b2, v15
	v_mul_f32_e32 v17, 0x3f4a47b2, v17
	;; [unrolled: 1-line block ×8, first 2 shown]
	v_fmamk_f32 v20, v20, 0xbf955555, v12
	v_fmamk_f32 v22, v22, 0xbf955555, v13
	;; [unrolled: 1-line block ×4, first 2 shown]
	v_fma_f32 v37, 0x3f3bfb3b, v40, -v37
	v_fma_f32 v39, 0x3f3bfb3b, v41, -v39
	;; [unrolled: 1-line block ×4, first 2 shown]
	v_fmamk_f32 v40, v38, 0xbeae86e6, v42
	v_fmamk_f32 v41, v16, 0xbeae86e6, v43
	v_fma_f32 v36, 0xbf5ff5aa, v36, -v42
	v_fma_f32 v42, 0xbf5ff5aa, v14, -v43
	;; [unrolled: 1-line block ×4, first 2 shown]
	v_add_f32_e32 v44, v21, v20
	v_add_f32_e32 v45, v23, v22
	v_fmac_f32_e32 v40, 0xbee1c552, v19
	v_fmac_f32_e32 v41, 0xbee1c552, v18
	v_add_f32_e32 v21, v37, v20
	v_add_f32_e32 v23, v39, v22
	;; [unrolled: 1-line block ×4, first 2 shown]
	v_fmac_f32_e32 v36, 0xbee1c552, v19
	v_fmac_f32_e32 v43, 0xbee1c552, v18
	;; [unrolled: 1-line block ×4, first 2 shown]
	v_add_f32_e32 v14, v41, v44
	v_sub_f32_e32 v15, v45, v40
	v_add_f32_e32 v16, v43, v37
	v_sub_f32_e32 v17, v39, v38
	v_sub_f32_e32 v18, v21, v42
	v_add_f32_e32 v19, v36, v23
	v_add_f32_e32 v20, v42, v21
	v_sub_f32_e32 v21, v23, v36
	v_add_f32_e32 v23, v38, v39
	v_add_nc_u32_e32 v38, 0x800, v115
	v_sub_f32_e32 v22, v37, v43
	v_add_nc_u32_e32 v39, 0x1000, v115
	v_sub_f32_e32 v36, v44, v41
	v_add_f32_e32 v37, v40, v45
	s_barrier
	buffer_gl0_inv
	ds_write2_b64 v115, v[12:13], v[14:15] offset1:130
	ds_write2_b64 v38, v[16:17], v[18:19] offset0:4 offset1:134
	ds_write2_b64 v39, v[20:21], v[22:23] offset0:8 offset1:138
	ds_write_b64 v115, v[36:37] offset:6240
	s_and_saveexec_b32 s1, s0
	s_cbranch_execz .LBB0_17
; %bb.16:
	v_mul_f32_e32 v12, v29, v11
	v_mul_f32_e32 v13, v27, v5
	v_mul_f32_e32 v14, v25, v7
	v_mul_f32_e32 v15, v31, v9
	v_mul_f32_e32 v16, v33, v3
	v_mul_f32_e32 v17, v35, v104
	v_fmac_f32_e32 v13, v26, v4
	v_fmac_f32_e32 v14, v24, v6
	;; [unrolled: 1-line block ×5, first 2 shown]
	v_mul_f32_e32 v20, v35, v103
	v_mul_f32_e32 v10, v29, v10
	;; [unrolled: 1-line block ×4, first 2 shown]
	v_fmac_f32_e32 v17, v34, v103
	v_sub_f32_e32 v18, v13, v14
	v_sub_f32_e32 v19, v15, v16
	v_fma_f32 v20, v34, v104, -v20
	v_fma_f32 v10, v28, v11, -v10
	v_mul_f32_e32 v6, v25, v6
	v_mul_f32_e32 v4, v27, v4
	v_fma_f32 v2, v32, v3, -v2
	v_fma_f32 v3, v30, v9, -v8
	v_sub_f32_e32 v21, v12, v17
	v_add_f32_e32 v8, v18, v19
	v_add_f32_e32 v9, v20, v10
	v_fma_f32 v6, v24, v7, -v6
	v_fma_f32 v4, v26, v5, -v4
	v_add_f32_e32 v5, v2, v3
	v_add_f32_e32 v7, v8, v21
	;; [unrolled: 1-line block ×7, first 2 shown]
	v_sub_f32_e32 v4, v4, v6
	v_add_f32_e32 v14, v15, v12
	v_sub_f32_e32 v24, v9, v8
	v_add_f32_e32 v11, v8, v11
	v_sub_f32_e32 v8, v8, v5
	v_sub_f32_e32 v22, v18, v19
	v_add_f32_e32 v14, v13, v14
	v_mul_f32_e32 v16, 0x3f4a47b2, v24
	v_add_f32_e32 v1, v1, v11
	v_sub_f32_e32 v24, v12, v13
	v_mul_f32_e32 v17, 0x3d64c772, v8
	v_sub_f32_e32 v13, v13, v15
	v_fmamk_f32 v8, v8, 0x3d64c772, v16
	v_fmamk_f32 v11, v11, 0xbf955555, v1
	v_mul_f32_e32 v6, 0x3f4a47b2, v24
	v_add_f32_e32 v0, v0, v14
	v_sub_f32_e32 v2, v3, v2
	v_sub_f32_e32 v10, v10, v20
	v_add_f32_e32 v20, v8, v11
	v_fmamk_f32 v8, v13, 0x3d64c772, v6
	v_fmamk_f32 v14, v14, 0xbf955555, v0
	v_sub_f32_e32 v19, v19, v21
	v_sub_f32_e32 v23, v21, v18
	;; [unrolled: 1-line block ×4, first 2 shown]
	v_add_f32_e32 v21, v8, v14
	v_add_f32_e32 v4, v4, v2
	v_mul_f32_e32 v8, 0xbf5ff5aa, v19
	v_sub_f32_e32 v5, v5, v9
	v_sub_f32_e32 v9, v15, v12
	;; [unrolled: 1-line block ×3, first 2 shown]
	v_mul_f32_e32 v22, 0x3f08b237, v22
	v_mul_f32_e32 v25, 0x3f08b237, v3
	;; [unrolled: 1-line block ×3, first 2 shown]
	v_add_f32_e32 v4, v4, v10
	v_fma_f32 v10, 0x3eae86e6, v23, -v8
	v_fma_f32 v8, 0xbf3bfb3b, v5, -v16
	;; [unrolled: 1-line block ×3, first 2 shown]
	v_mul_f32_e32 v12, 0xbf5ff5aa, v2
	v_fmamk_f32 v18, v23, 0xbeae86e6, v22
	v_fmamk_f32 v26, v24, 0xbeae86e6, v25
	v_add_f32_e32 v15, v8, v11
	v_add_f32_e32 v16, v6, v14
	v_fma_f32 v12, 0x3eae86e6, v24, -v12
	v_fma_f32 v5, 0x3f3bfb3b, v5, -v17
	;; [unrolled: 1-line block ×5, first 2 shown]
	v_mov_b32_e32 v13, 3
	v_fmac_f32_e32 v18, 0xbee1c552, v7
	v_fmac_f32_e32 v26, 0xbee1c552, v4
	;; [unrolled: 1-line block ×4, first 2 shown]
	v_add_f32_e32 v9, v5, v11
	v_fmac_f32_e32 v8, 0xbee1c552, v7
	v_fmac_f32_e32 v2, 0xbee1c552, v4
	v_add_f32_e32 v11, v6, v14
	v_lshlrev_b32_sdwa v14, v13, v114 dst_sel:DWORD dst_unused:UNUSED_PAD src0_sel:DWORD src1_sel:WORD_0
	v_add_f32_e32 v5, v10, v15
	v_sub_f32_e32 v4, v16, v12
	v_sub_f32_e32 v7, v9, v8
	v_add_f32_e32 v6, v2, v11
	v_add_f32_e32 v9, v8, v9
	v_sub_f32_e32 v8, v11, v2
	v_sub_f32_e32 v11, v15, v10
	v_add_f32_e32 v10, v12, v16
	v_sub_f32_e32 v13, v20, v18
	v_add_f32_e32 v12, v26, v21
	v_add_nc_u32_e32 v15, 0x1c00, v14
	v_add_nc_u32_e32 v16, 0x2400, v14
	;; [unrolled: 1-line block ×3, first 2 shown]
	v_add_f32_e32 v3, v18, v20
	v_sub_f32_e32 v2, v21, v26
	ds_write2_b64 v15, v[0:1], v[12:13] offset0:14 offset1:144
	ds_write2_b64 v16, v[10:11], v[8:9] offset0:18 offset1:148
	;; [unrolled: 1-line block ×3, first 2 shown]
	ds_write_b64 v14, v[2:3] offset:13520
.LBB0_17:
	s_or_b32 exec_lo, exec_lo, s1
	v_add_nc_u32_e32 v22, 0x1600, v108
	v_add_nc_u32_e32 v29, 0x2000, v108
	;; [unrolled: 1-line block ×3, first 2 shown]
	s_waitcnt lgkmcnt(0)
	s_barrier
	buffer_gl0_inv
	ds_read2_b64 v[0:3], v22 offset0:24 offset1:206
	ds_read2_b64 v[4:7], v29 offset0:68 offset1:250
	;; [unrolled: 1-line block ×3, first 2 shown]
	v_add_nc_u32_e32 v23, 0xa00, v108
	ds_read2_b64 v[12:15], v108 offset1:182
	ds_read2_b64 v[16:19], v23 offset0:44 offset1:226
	s_mov_b32 s0, 0x12012012
	s_mov_b32 s1, 0x3f420120
	s_mul_i32 s2, s9, 0x5b0
	s_mul_hi_u32 s3, s8, 0x5b0
	s_add_i32 s3, s3, s2
	s_mul_i32 s2, s8, 0x5b0
	s_waitcnt lgkmcnt(3)
	v_mul_f32_e32 v24, v96, v5
	v_mul_f32_e32 v25, v96, v4
	;; [unrolled: 1-line block ×6, first 2 shown]
	s_waitcnt lgkmcnt(2)
	v_mul_f32_e32 v28, v98, v9
	v_mul_f32_e32 v31, v98, v8
	v_fmac_f32_e32 v24, v95, v4
	v_fma_f32 v5, v95, v5, -v25
	v_mul_f32_e32 v32, v102, v11
	v_mul_f32_e32 v33, v102, v10
	v_fmac_f32_e32 v20, v93, v2
	v_fma_f32 v3, v93, v3, -v21
	v_fmac_f32_e32 v26, v99, v6
	v_fma_f32 v7, v99, v7, -v27
	;; [unrolled: 2-line block ×3, first 2 shown]
	s_waitcnt lgkmcnt(1)
	v_sub_f32_e32 v4, v14, v24
	v_sub_f32_e32 v5, v15, v5
	v_fmac_f32_e32 v32, v101, v10
	v_fma_f32 v25, v101, v11, -v33
	v_sub_f32_e32 v2, v12, v20
	v_sub_f32_e32 v3, v13, v3
	s_waitcnt lgkmcnt(0)
	v_sub_f32_e32 v6, v16, v26
	v_fma_f32 v10, v14, 2.0, -v4
	v_fma_f32 v11, v15, 2.0, -v5
	v_sub_f32_e32 v7, v17, v7
	v_sub_f32_e32 v14, v18, v28
	;; [unrolled: 1-line block ×5, first 2 shown]
	v_fma_f32 v8, v12, 2.0, -v2
	v_fma_f32 v9, v13, 2.0, -v3
	v_fma_f32 v12, v16, 2.0, -v6
	v_fma_f32 v13, v17, 2.0, -v7
	v_fma_f32 v16, v18, 2.0, -v14
	v_fma_f32 v17, v19, 2.0, -v15
	v_fma_f32 v0, v0, 2.0, -v20
	v_fma_f32 v1, v1, 2.0, -v21
	ds_write_b64 v108, v[2:3] offset:7280
	ds_write2_b64 v108, v[8:9], v[10:11] offset1:182
	ds_write2_b64 v29, v[4:5], v[6:7] offset0:68 offset1:250
	ds_write2_b64 v23, v[12:13], v[16:17] offset0:44 offset1:226
	ds_write_b64 v108, v[0:1] offset:5824
	ds_write2_b64 v30, v[14:15], v[20:21] offset0:48 offset1:230
	s_waitcnt lgkmcnt(0)
	s_barrier
	buffer_gl0_inv
	ds_read2_b64 v[0:3], v108 offset1:182
	v_mad_u64_u32 v[4:5], null, s10, v74, 0
	v_mad_u64_u32 v[6:7], null, s8, v107, 0
	;; [unrolled: 1-line block ×3, first 2 shown]
	v_mov_b32_e32 v5, v7
	v_mad_u64_u32 v[17:18], null, s9, v107, v[5:6]
	s_waitcnt lgkmcnt(0)
	v_mul_f32_e32 v10, v84, v1
	v_mul_f32_e32 v11, v84, v0
	;; [unrolled: 1-line block ×3, first 2 shown]
	v_mov_b32_e32 v5, v8
	v_fmac_f32_e32 v10, v83, v0
	v_mul_f32_e32 v0, v86, v2
	v_fma_f32 v11, v83, v1, -v11
	v_fmac_f32_e32 v13, v85, v2
	v_mov_b32_e32 v7, v17
	v_cvt_f64_f32_e32 v[9:10], v10
	v_fma_f32 v15, v85, v3, -v0
	v_cvt_f64_f32_e32 v[11:12], v11
	v_cvt_f64_f32_e32 v[13:14], v13
	ds_read2_b64 v[0:3], v23 offset0:44 offset1:226
	v_lshlrev_b64 v[17:18], 3, v[4:5]
	v_cvt_f64_f32_e32 v[15:16], v15
	v_lshlrev_b64 v[19:20], 3, v[6:7]
	ds_read2_b64 v[4:7], v22 offset0:24 offset1:206
	v_mul_f64 v[8:9], v[9:10], s[0:1]
	s_waitcnt lgkmcnt(1)
	v_mul_f32_e32 v21, v92, v1
	v_mul_f32_e32 v23, v92, v0
	v_mul_f32_e32 v24, v90, v3
	v_mul_f64 v[10:11], v[11:12], s[0:1]
	v_mul_f64 v[12:13], v[13:14], s[0:1]
	;; [unrolled: 1-line block ×3, first 2 shown]
	v_mul_f32_e32 v16, v90, v2
	v_fmac_f32_e32 v21, v91, v0
	v_fma_f32 v0, v91, v1, -v23
	v_fmac_f32_e32 v24, v89, v2
	v_add_co_u32 v1, vcc_lo, s4, v17
	v_fma_f32 v3, v89, v3, -v16
	v_cvt_f64_f32_e32 v[16:17], v21
	v_cvt_f64_f32_e32 v[21:22], v0
	;; [unrolled: 1-line block ×3, first 2 shown]
	v_add_co_ci_u32_e32 v2, vcc_lo, s5, v18, vcc_lo
	v_cvt_f64_f32_e32 v[25:26], v3
	v_add_co_u32 v18, vcc_lo, v1, v19
	v_add_co_ci_u32_e32 v19, vcc_lo, v2, v20, vcc_lo
	ds_read2_b64 v[0:3], v29 offset0:68 offset1:250
	v_cvt_f32_f64_e32 v27, v[8:9]
	s_waitcnt lgkmcnt(1)
	v_mul_f32_e32 v8, v88, v4
	v_cvt_f32_f64_e32 v28, v[10:11]
	v_mul_f32_e32 v29, v88, v5
	v_cvt_f32_f64_e32 v12, v[12:13]
	v_cvt_f32_f64_e32 v13, v[14:15]
	v_fma_f32 v31, v87, v5, -v8
	ds_read2_b64 v[8:11], v30 offset0:48 offset1:230
	v_fmac_f32_e32 v29, v87, v4
	v_add_co_u32 v14, vcc_lo, v18, s2
	v_mul_f64 v[16:17], v[16:17], s[0:1]
	v_mul_f64 v[20:21], v[21:22], s[0:1]
	;; [unrolled: 1-line block ×3, first 2 shown]
	v_add_co_ci_u32_e32 v15, vcc_lo, s3, v19, vcc_lo
	v_mul_f64 v[22:23], v[25:26], s[0:1]
	v_mul_f32_e32 v26, v80, v7
	v_cvt_f64_f32_e32 v[24:25], v29
	s_waitcnt lgkmcnt(1)
	v_mul_f32_e32 v35, v73, v3
	v_mul_f32_e32 v32, v82, v1
	;; [unrolled: 1-line block ×3, first 2 shown]
	v_fmac_f32_e32 v26, v79, v6
	v_cvt_f64_f32_e32 v[29:30], v31
	v_mul_f32_e32 v31, v80, v6
	v_fmac_f32_e32 v35, v72, v2
	v_mul_f32_e32 v2, v73, v2
	v_fmac_f32_e32 v32, v81, v0
	v_fma_f32 v33, v81, v1, -v33
	v_cvt_f64_f32_e32 v[0:1], v26
	s_waitcnt lgkmcnt(0)
	v_mul_f32_e32 v26, v76, v9
	v_mul_f32_e32 v37, v76, v8
	v_fma_f32 v6, v79, v7, -v31
	v_mul_f32_e32 v38, v78, v11
	v_mul_f32_e32 v39, v78, v10
	v_fma_f32 v2, v72, v3, -v2
	v_fmac_f32_e32 v26, v75, v8
	v_fma_f32 v37, v75, v9, -v37
	v_cvt_f64_f32_e32 v[6:7], v6
	v_fmac_f32_e32 v38, v77, v10
	v_fma_f32 v39, v77, v11, -v39
	v_cvt_f64_f32_e32 v[31:32], v32
	v_cvt_f64_f32_e32 v[33:34], v33
	;; [unrolled: 1-line block ×8, first 2 shown]
	global_store_dwordx2 v[18:19], v[27:28], off
	global_store_dwordx2 v[14:15], v[12:13], off
	v_cvt_f32_f64_e32 v12, v[16:17]
	v_mul_f64 v[16:17], v[24:25], s[0:1]
	v_mul_f64 v[18:19], v[29:30], s[0:1]
	v_mul_f64 v[0:1], v[0:1], s[0:1]
	v_cvt_f32_f64_e32 v13, v[20:21]
	v_cvt_f32_f64_e32 v4, v[4:5]
	;; [unrolled: 1-line block ×3, first 2 shown]
	v_add_co_u32 v14, vcc_lo, v14, s2
	v_add_co_ci_u32_e32 v15, vcc_lo, s3, v15, vcc_lo
	v_mul_f64 v[6:7], v[6:7], s[0:1]
	v_add_co_u32 v30, vcc_lo, v14, s2
	v_mul_f64 v[20:21], v[31:32], s[0:1]
	v_mul_f64 v[22:23], v[33:34], s[0:1]
	;; [unrolled: 1-line block ×8, first 2 shown]
	v_add_co_ci_u32_e32 v31, vcc_lo, s3, v15, vcc_lo
	v_cvt_f32_f64_e32 v16, v[16:17]
	v_cvt_f32_f64_e32 v17, v[18:19]
	v_add_co_u32 v18, vcc_lo, v30, s2
	v_add_co_ci_u32_e32 v19, vcc_lo, s3, v31, vcc_lo
	v_cvt_f32_f64_e32 v0, v[0:1]
	global_store_dwordx2 v[14:15], v[12:13], off
	global_store_dwordx2 v[30:31], v[4:5], off
	v_cvt_f32_f64_e32 v1, v[6:7]
	v_add_co_u32 v6, vcc_lo, v18, s2
	v_add_co_ci_u32_e32 v7, vcc_lo, s3, v19, vcc_lo
	v_cvt_f32_f64_e32 v20, v[20:21]
	v_cvt_f32_f64_e32 v21, v[22:23]
	;; [unrolled: 1-line block ×8, first 2 shown]
	v_add_co_u32 v10, vcc_lo, v6, s2
	v_add_co_ci_u32_e32 v11, vcc_lo, s3, v7, vcc_lo
	global_store_dwordx2 v[18:19], v[16:17], off
	v_add_co_u32 v12, vcc_lo, v10, s2
	v_add_co_ci_u32_e32 v13, vcc_lo, s3, v11, vcc_lo
	v_add_co_u32 v4, vcc_lo, v12, s2
	v_add_co_ci_u32_e32 v5, vcc_lo, s3, v13, vcc_lo
	;; [unrolled: 2-line block ×3, first 2 shown]
	global_store_dwordx2 v[6:7], v[0:1], off
	global_store_dwordx2 v[10:11], v[20:21], off
	;; [unrolled: 1-line block ×5, first 2 shown]
.LBB0_18:
	s_endpgm
	.section	.rodata,"a",@progbits
	.p2align	6, 0x0
	.amdhsa_kernel bluestein_single_back_len1820_dim1_sp_op_CI_CI
		.amdhsa_group_segment_fixed_size 14560
		.amdhsa_private_segment_fixed_size 0
		.amdhsa_kernarg_size 104
		.amdhsa_user_sgpr_count 6
		.amdhsa_user_sgpr_private_segment_buffer 1
		.amdhsa_user_sgpr_dispatch_ptr 0
		.amdhsa_user_sgpr_queue_ptr 0
		.amdhsa_user_sgpr_kernarg_segment_ptr 1
		.amdhsa_user_sgpr_dispatch_id 0
		.amdhsa_user_sgpr_flat_scratch_init 0
		.amdhsa_user_sgpr_private_segment_size 0
		.amdhsa_wavefront_size32 1
		.amdhsa_uses_dynamic_stack 0
		.amdhsa_system_sgpr_private_segment_wavefront_offset 0
		.amdhsa_system_sgpr_workgroup_id_x 1
		.amdhsa_system_sgpr_workgroup_id_y 0
		.amdhsa_system_sgpr_workgroup_id_z 0
		.amdhsa_system_sgpr_workgroup_info 0
		.amdhsa_system_vgpr_workitem_id 0
		.amdhsa_next_free_vgpr 240
		.amdhsa_next_free_sgpr 20
		.amdhsa_reserve_vcc 1
		.amdhsa_reserve_flat_scratch 0
		.amdhsa_float_round_mode_32 0
		.amdhsa_float_round_mode_16_64 0
		.amdhsa_float_denorm_mode_32 3
		.amdhsa_float_denorm_mode_16_64 3
		.amdhsa_dx10_clamp 1
		.amdhsa_ieee_mode 1
		.amdhsa_fp16_overflow 0
		.amdhsa_workgroup_processor_mode 1
		.amdhsa_memory_ordered 1
		.amdhsa_forward_progress 0
		.amdhsa_shared_vgpr_count 0
		.amdhsa_exception_fp_ieee_invalid_op 0
		.amdhsa_exception_fp_denorm_src 0
		.amdhsa_exception_fp_ieee_div_zero 0
		.amdhsa_exception_fp_ieee_overflow 0
		.amdhsa_exception_fp_ieee_underflow 0
		.amdhsa_exception_fp_ieee_inexact 0
		.amdhsa_exception_int_div_zero 0
	.end_amdhsa_kernel
	.text
.Lfunc_end0:
	.size	bluestein_single_back_len1820_dim1_sp_op_CI_CI, .Lfunc_end0-bluestein_single_back_len1820_dim1_sp_op_CI_CI
                                        ; -- End function
	.section	.AMDGPU.csdata,"",@progbits
; Kernel info:
; codeLenInByte = 15416
; NumSgprs: 22
; NumVgprs: 240
; ScratchSize: 0
; MemoryBound: 0
; FloatMode: 240
; IeeeMode: 1
; LDSByteSize: 14560 bytes/workgroup (compile time only)
; SGPRBlocks: 2
; VGPRBlocks: 29
; NumSGPRsForWavesPerEU: 22
; NumVGPRsForWavesPerEU: 240
; Occupancy: 4
; WaveLimiterHint : 1
; COMPUTE_PGM_RSRC2:SCRATCH_EN: 0
; COMPUTE_PGM_RSRC2:USER_SGPR: 6
; COMPUTE_PGM_RSRC2:TRAP_HANDLER: 0
; COMPUTE_PGM_RSRC2:TGID_X_EN: 1
; COMPUTE_PGM_RSRC2:TGID_Y_EN: 0
; COMPUTE_PGM_RSRC2:TGID_Z_EN: 0
; COMPUTE_PGM_RSRC2:TIDIG_COMP_CNT: 0
	.text
	.p2alignl 6, 3214868480
	.fill 48, 4, 3214868480
	.type	__hip_cuid_5dfd8f96e3dc1384,@object ; @__hip_cuid_5dfd8f96e3dc1384
	.section	.bss,"aw",@nobits
	.globl	__hip_cuid_5dfd8f96e3dc1384
__hip_cuid_5dfd8f96e3dc1384:
	.byte	0                               ; 0x0
	.size	__hip_cuid_5dfd8f96e3dc1384, 1

	.ident	"AMD clang version 19.0.0git (https://github.com/RadeonOpenCompute/llvm-project roc-6.4.0 25133 c7fe45cf4b819c5991fe208aaa96edf142730f1d)"
	.section	".note.GNU-stack","",@progbits
	.addrsig
	.addrsig_sym __hip_cuid_5dfd8f96e3dc1384
	.amdgpu_metadata
---
amdhsa.kernels:
  - .args:
      - .actual_access:  read_only
        .address_space:  global
        .offset:         0
        .size:           8
        .value_kind:     global_buffer
      - .actual_access:  read_only
        .address_space:  global
        .offset:         8
        .size:           8
        .value_kind:     global_buffer
      - .actual_access:  read_only
        .address_space:  global
        .offset:         16
        .size:           8
        .value_kind:     global_buffer
      - .actual_access:  read_only
        .address_space:  global
        .offset:         24
        .size:           8
        .value_kind:     global_buffer
      - .actual_access:  read_only
        .address_space:  global
        .offset:         32
        .size:           8
        .value_kind:     global_buffer
      - .offset:         40
        .size:           8
        .value_kind:     by_value
      - .address_space:  global
        .offset:         48
        .size:           8
        .value_kind:     global_buffer
      - .address_space:  global
        .offset:         56
        .size:           8
        .value_kind:     global_buffer
      - .address_space:  global
        .offset:         64
        .size:           8
        .value_kind:     global_buffer
      - .address_space:  global
        .offset:         72
        .size:           8
        .value_kind:     global_buffer
      - .offset:         80
        .size:           4
        .value_kind:     by_value
      - .address_space:  global
        .offset:         88
        .size:           8
        .value_kind:     global_buffer
      - .address_space:  global
        .offset:         96
        .size:           8
        .value_kind:     global_buffer
    .group_segment_fixed_size: 14560
    .kernarg_segment_align: 8
    .kernarg_segment_size: 104
    .language:       OpenCL C
    .language_version:
      - 2
      - 0
    .max_flat_workgroup_size: 182
    .name:           bluestein_single_back_len1820_dim1_sp_op_CI_CI
    .private_segment_fixed_size: 0
    .sgpr_count:     22
    .sgpr_spill_count: 0
    .symbol:         bluestein_single_back_len1820_dim1_sp_op_CI_CI.kd
    .uniform_work_group_size: 1
    .uses_dynamic_stack: false
    .vgpr_count:     240
    .vgpr_spill_count: 0
    .wavefront_size: 32
    .workgroup_processor_mode: 1
amdhsa.target:   amdgcn-amd-amdhsa--gfx1030
amdhsa.version:
  - 1
  - 2
...

	.end_amdgpu_metadata
